;; amdgpu-corpus repo=ROCm/aiter kind=harvested arch=n/a opt=n/a

/root/src/amdgpu-assembly/repos/ROCm__aiter/hsa/gfx950/fmoe/silu/fmoe_f16_blockscaleFp8_g1u1_vs_silu_1tg_32x256.co:	file format elf64-amdgpu

Disassembly of section .text:

0000000000002e00 <_ZN5aiter46fmoe_f16_blockscaleFp8_g1u1_vs_silu_1tg_32x256E>:
	s_and_b32 s1, s1, 0xffff                                   // 000000002E00: 8601FF01 0000FFFF
	s_load_dwordx2 s[8:9], s[0:1], 0x0                         // 000000002E08: C0060200 00000000
	s_load_dwordx2 s[20:21], s[0:1], 0x10                      // 000000002E10: C0060500 00000010
	s_load_dwordx2 s[24:25], s[0:1], 0x20                      // 000000002E18: C0060600 00000020
	s_load_dwordx2 s[50:51], s[0:1], 0x30                      // 000000002E20: C0060C80 00000030
	s_load_dwordx2 s[12:13], s[0:1], 0x40                      // 000000002E28: C0060300 00000040
	s_load_dwordx2 s[28:29], s[0:1], 0x50                      // 000000002E30: C0060700 00000050
	s_load_dwordx2 s[32:33], s[0:1], 0x60                      // 000000002E38: C0060800 00000060
	s_load_dwordx2 s[16:17], s[0:1], 0x70                      // 000000002E40: C0060400 00000070
	s_load_dwordx2 s[36:37], s[0:1], 0x80                      // 000000002E48: C0060900 00000080
	s_load_dwordx2 s[44:45], s[0:1], 0x90                      // 000000002E50: C0060B00 00000090
	s_load_dwordx2 s[40:41], s[0:1], 0xa0                      // 000000002E58: C0060A00 000000A0
	s_load_dwordx2 s[46:47], s[0:1], 0xb0                      // 000000002E60: C0060B80 000000B0
	s_load_dword s64, s[0:1], 0xc0                             // 000000002E68: C0021000 000000C0
	s_load_dword s65, s[0:1], 0xd0                             // 000000002E70: C0021040 000000D0
	s_load_dword s66, s[0:1], 0xe0                             // 000000002E78: C0021080 000000E0
	s_load_dword s67, s[0:1], 0xf0                             // 000000002E80: C00210C0 000000F0
	s_load_dword s68, s[0:1], 0x100                            // 000000002E88: C0021100 00000100
	s_load_dword s69, s[0:1], 0x110                            // 000000002E90: C0021140 00000110
	s_load_dword s70, s[0:1], 0x120                            // 000000002E98: C0021180 00000120
	s_load_dword s71, s[0:1], 0x130                            // 000000002EA0: C00211C0 00000130
	s_load_dword s72, s[0:1], 0x140                            // 000000002EA8: C0021200 00000140
	s_load_dword s73, s[0:1], 0x150                            // 000000002EB0: C0021240 00000150
	s_load_dword s74, s[0:1], 0x160                            // 000000002EB8: C0021280 00000160
	s_load_dword s75, s[0:1], 0x170                            // 000000002EC0: C00212C0 00000170
	s_load_dword s76, s[0:1], 0x180                            // 000000002EC8: C0021300 00000180
	v_lshrrev_b32_e32 v1, 10, v0                               // 000000002ED0: 2002008A
	v_lshrrev_b32_e32 v2, 10, v1                               // 000000002ED4: 2004028A
	v_and_b32_e32 v2, 0x3ff, v2                                // 000000002ED8: 260404FF 000003FF
	v_and_b32_e32 v1, 0x3ff, v1                                // 000000002EE0: 260202FF 000003FF
	v_and_b32_e32 v0, 0x3ff, v0                                // 000000002EE8: 260000FF 000003FF
	v_lshrrev_b32_e32 v3, 6, v0                                // 000000002EF0: 20060086
	v_and_b32_e32 v0, 63, v0                                   // 000000002EF4: 260000BF
	s_mov_b32 s2, s2                                           // 000000002EF8: BE820002
	s_mov_b32 s3, s3                                           // 000000002EFC: BE830003
	s_mov_b32 s4, s4                                           // 000000002F00: BE840004
	v_readfirstlane_b32 s7, v3                                 // 000000002F04: 7E0E0503
	s_waitcnt lgkmcnt(0)                                       // 000000002F08: BF8CC07F
	s_and_b32 s51, s51, 0xffff                                 // 000000002F0C: 8633FF33 0000FFFF
	s_load_dword s50, s[50:51], 0x0                            // 000000002F14: C0020C99 00000000
	s_and_b32 s45, s45, 0xffff                                 // 000000002F1C: 862DFF2D 0000FFFF
	s_and_b32 s47, s47, 0xffff                                 // 000000002F24: 862FFF2F 0000FFFF
	s_and_b32 s9, s9, 0xffff                                   // 000000002F2C: 8609FF09 0000FFFF
	s_mul_i32 s60, s66, s68                                    // 000000002F34: 923C4442
	s_mul_i32 s61, s66, 4                                      // 000000002F38: 923D8442
	s_mov_b32 s22, s60                                         // 000000002F3C: BE96003C
	s_mov_b32 s26, -16                                         // 000000002F40: BE9A00D0
	s_mov_b32 s14, -16                                         // 000000002F44: BE8E00D0
	s_mov_b32 s42, -16                                         // 000000002F48: BEAA00D0
	s_mov_b32 s30, -16                                         // 000000002F4C: BE9E00D0
	s_mov_b32 s34, -16                                         // 000000002F50: BEA200D0
	s_mov_b32 s38, -16                                         // 000000002F54: BEA600D0
	s_mov_b32 s18, -16                                         // 000000002F58: BE9200D0
	s_mov_b32 s23, 0x20000                                     // 000000002F5C: BE9700FF 00020000
	s_mov_b32 s27, 0x20000                                     // 000000002F64: BE9B00FF 00020000
	s_mov_b32 s15, 0x20000                                     // 000000002F6C: BE8F00FF 00020000
	s_mov_b32 s43, 0x20000                                     // 000000002F74: BEAB00FF 00020000
	s_mov_b32 s31, 0x20000                                     // 000000002F7C: BE9F00FF 00020000
	s_mov_b32 s35, 0x20000                                     // 000000002F84: BEA300FF 00020000
	s_mov_b32 s39, 0x20000                                     // 000000002F8C: BEA700FF 00020000
	s_mov_b32 s19, 0x20000                                     // 000000002F94: BE9300FF 00020000
	s_and_b32 s21, s21, 0xffff                                 // 000000002F9C: 8615FF15 0000FFFF
	s_and_b32 s25, s25, 0xffff                                 // 000000002FA4: 8619FF19 0000FFFF
	s_and_b32 s13, s13, 0xffff                                 // 000000002FAC: 860DFF0D 0000FFFF
	s_and_b32 s41, s41, 0xffff                                 // 000000002FB4: 8629FF29 0000FFFF
	s_and_b32 s29, s29, 0xffff                                 // 000000002FBC: 861DFF1D 0000FFFF
	s_and_b32 s33, s33, 0xffff                                 // 000000002FC4: 8621FF21 0000FFFF
	s_and_b32 s37, s37, 0xffff                                 // 000000002FCC: 8625FF25 0000FFFF
	s_and_b32 s17, s17, 0xffff                                 // 000000002FD4: 8611FF11 0000FFFF
	s_or_b32 s21, s21, 0x40000                                 // 000000002FDC: 8715FF15 00040000
	s_or_b32 s25, s25, 0x40000                                 // 000000002FE4: 8719FF19 00040000
	s_or_b32 s13, s13, 0x40000                                 // 000000002FEC: 870DFF0D 00040000
	s_or_b32 s41, s41, 0x40000                                 // 000000002FF4: 8729FF29 00040000
	s_or_b32 s29, s29, 0x40000                                 // 000000002FFC: 871DFF1D 00040000
	s_or_b32 s33, s33, 0x40000                                 // 000000003004: 8721FF21 00040000
	s_or_b32 s37, s37, 0x40000                                 // 00000000300C: 8725FF25 00040000
	s_or_b32 s17, s17, 0x40000                                 // 000000003014: 8711FF11 00040000
	v_accvgpr_write_b32 a127, 0                                // 00000000301C: D3D9407F 18000080
	v_mov_b32_e32 v255, 0                                      // 000000003024: 7FFE0280
	s_waitcnt lgkmcnt(0)                                       // 000000003028: BF8CC07F
	s_mul_i32 s60, s3, 32                                      // 00000000302C: 923CA003
	s_cmp_lt_i32 s60, s50                                      // 000000003030: BF04323C
	s_cbranch_scc0 label_1A49                                  // 000000003034: BF8419BB
	s_mov_b32 s80, 0                                           // 000000003038: BED00080
	s_mov_b32 s81, s64                                         // 00000000303C: BED10040
	s_mul_i32 s60, s3, 4                                       // 000000003040: 923C8403
	s_add_u32 s46, s60, s46                                    // 000000003044: 802E2E3C
	s_addc_u32 s47, 0, s47                                     // 000000003048: 822F2F80
	s_load_dword s5, s[46:47], 0x0                             // 00000000304C: C0020157 00000000
	s_mul_i32 s60, s3, 32                                      // 000000003054: 923CA003
	s_mul_i32 s60, 4, s60                                      // 000000003058: 923C3C84
	v_and_b32_e32 v56, 15, v0                                  // 00000000305C: 2670008F
	v_lshlrev_b32_e32 v56, 2, v56                              // 000000003060: 24707082
	v_add_u32_e32 v56, s60, v56                                // 000000003064: 6870703C
	v_mov_b32_e32 v57, 0                                       // 000000003068: 7E720280
	global_load_dword v7, v56, s[44:45]                        // 00000000306C: DC508000 072C0038
	v_add_u32_e32 v56, 64, v56                                 // 000000003074: 687070C0
	global_load_dword v8, v56, s[44:45]                        // 000000003078: DC508000 082C0038
	s_mul_i32 s60, s3, 32                                      // 000000003080: 923CA003
	s_add_u32 s60, s7, s60                                     // 000000003084: 803C3C07
	s_mul_i32 s60, 4, s60                                      // 000000003088: 923C3C84
	s_add_u32 s44, s60, s44                                    // 00000000308C: 802C2C3C
	s_addc_u32 s45, 0, s45                                     // 000000003090: 822D2D80
	s_load_dword s82, s[44:45], 0x0                            // 000000003094: C0021496 00000000
	s_load_dword s83, s[44:45], 0x10                           // 00000000309C: C00214D6 00000010
	s_load_dword s84, s[44:45], 0x20                           // 0000000030A4: C0021516 00000020
	s_load_dword s85, s[44:45], 0x30                           // 0000000030AC: C0021556 00000030
	s_load_dword s86, s[44:45], 0x40                           // 0000000030B4: C0021596 00000040
	s_load_dword s87, s[44:45], 0x50                           // 0000000030BC: C00215D6 00000050
	s_load_dword s88, s[44:45], 0x60                           // 0000000030C4: C0021616 00000060
	s_load_dword s89, s[44:45], 0x70                           // 0000000030CC: C0021656 00000070
	s_waitcnt lgkmcnt(0)                                       // 0000000030D4: BF8CC07F
	v_lshlrev_b32_e32 v56, 2, v0                               // 0000000030D8: 24700082
	s_and_b32 s82, s82, 0xffffff                               // 0000000030DC: 8652FF52 00FFFFFF
	s_mul_i32 s60, s82, s68                                    // 0000000030E4: 923C4452
	v_add_u32_e64 v36, v56, s60                                // 0000000030E8: D1340024 00007938
	s_and_b32 s83, s83, 0xffffff                               // 0000000030F0: 8653FF53 00FFFFFF
	s_mul_i32 s60, s83, s68                                    // 0000000030F8: 923C4453
	v_add_u32_e64 v37, v56, s60                                // 0000000030FC: D1340025 00007938
	s_and_b32 s84, s84, 0xffffff                               // 000000003104: 8654FF54 00FFFFFF
	s_mul_i32 s60, s84, s68                                    // 00000000310C: 923C4454
	v_add_u32_e64 v38, v56, s60                                // 000000003110: D1340026 00007938
	s_and_b32 s85, s85, 0xffffff                               // 000000003118: 8655FF55 00FFFFFF
	s_mul_i32 s60, s85, s68                                    // 000000003120: 923C4455
	v_add_u32_e64 v39, v56, s60                                // 000000003124: D1340027 00007938
	s_and_b32 s86, s86, 0xffffff                               // 00000000312C: 8656FF56 00FFFFFF
	s_mul_i32 s60, s86, s68                                    // 000000003134: 923C4456
	v_add_u32_e64 v40, v56, s60                                // 000000003138: D1340028 00007938
	s_and_b32 s87, s87, 0xffffff                               // 000000003140: 8657FF57 00FFFFFF
	s_mul_i32 s60, s87, s68                                    // 000000003148: 923C4457
	v_add_u32_e64 v41, v56, s60                                // 00000000314C: D1340029 00007938
	s_and_b32 s88, s88, 0xffffff                               // 000000003154: 8658FF58 00FFFFFF
	s_mul_i32 s60, s88, s68                                    // 00000000315C: 923C4458
	v_add_u32_e64 v42, v56, s60                                // 000000003160: D134002A 00007938
	s_and_b32 s89, s89, 0xffffff                               // 000000003168: 8659FF59 00FFFFFF
	s_mul_i32 s60, s89, s68                                    // 000000003170: 923C4459
	v_add_u32_e64 v43, v56, s60                                // 000000003174: D134002B 00007938
	v_lshlrev_b32_e32 v56, 2, v0                               // 00000000317C: 24700082
	s_mul_i32 s60, s82, s71                                    // 000000003180: 923C4752
	v_add_u32_e64 v80, v56, s60                                // 000000003184: D1340050 00007938
	v_mov_b32_e32 v81, 0                                       // 00000000318C: 7EA20280
	s_mul_i32 s60, s83, s71                                    // 000000003190: 923C4753
	v_add_u32_e64 v82, v56, s60                                // 000000003194: D1340052 00007938
	v_mov_b32_e32 v83, 0                                       // 00000000319C: 7EA60280
	s_mul_i32 s60, s84, s71                                    // 0000000031A0: 923C4754
	v_add_u32_e64 v84, v56, s60                                // 0000000031A4: D1340054 00007938
	v_mov_b32_e32 v85, 0                                       // 0000000031AC: 7EAA0280
	s_mul_i32 s60, s85, s71                                    // 0000000031B0: 923C4755
	v_add_u32_e64 v86, v56, s60                                // 0000000031B4: D1340056 00007938
	v_mov_b32_e32 v87, 0                                       // 0000000031BC: 7EAE0280
	s_mul_i32 s60, s86, s71                                    // 0000000031C0: 923C4756
	v_add_u32_e64 v88, v56, s60                                // 0000000031C4: D1340058 00007938
	v_mov_b32_e32 v89, 0                                       // 0000000031CC: 7EB20280
	s_mul_i32 s60, s87, s71                                    // 0000000031D0: 923C4757
	v_add_u32_e64 v90, v56, s60                                // 0000000031D4: D134005A 00007938
	v_mov_b32_e32 v91, 0                                       // 0000000031DC: 7EB60280
	s_mul_i32 s60, s88, s71                                    // 0000000031E0: 923C4758
	v_add_u32_e64 v92, v56, s60                                // 0000000031E4: D134005C 00007938
	v_mov_b32_e32 v93, 0                                       // 0000000031EC: 7EBA0280
	s_mul_i32 s60, s89, s71                                    // 0000000031F0: 923C4759
	v_add_u32_e64 v94, v56, s60                                // 0000000031F4: D134005E 00007938
	v_mov_b32_e32 v95, 0                                       // 0000000031FC: 7EBE0280
	s_mul_i32 s60, s7, 0x820                                   // 000000003200: 923CFF07 00000820
	s_add_u32 s50, 0, s60                                      // 000000003208: 80323C80
	s_add_u32 s51, 0x2480, s50                                 // 00000000320C: 803332FF 00002480
	v_lshrrev_b32_e32 v56, 4, v0                               // 000000003214: 20700084
	v_lshlrev_b32_e32 v57, 2, v56                              // 000000003218: 24727082
	v_and_b32_e32 v56, 15, v0                                  // 00000000321C: 2670008F
	v_lshrrev_b32_e32 v58, 2, v56                              // 000000003220: 20747082
	v_lshlrev_b32_e32 v58, 6, v58                              // 000000003224: 24747486
	v_add_u32_e32 v57, v58, v57                                // 000000003228: 6872733A
	v_and_b32_e32 v56, 3, v0                                   // 00000000322C: 26700083
	v_mul_i32_i24_e32 v58, 0x208, v56                          // 000000003230: 0C7470FF 00000208
	v_add_u32_e32 v57, v58, v57                                // 000000003238: 6872733A
	v_lshlrev_b32_e32 v2, 2, v57                               // 00000000323C: 24047282
	s_mul_i32 s60, s2, 0x100                                   // 000000003240: 923CFF02 00000100
	s_mul_i32 s60, s60, s69                                    // 000000003248: 923C453C
	s_mul_i32 s61, s5, s72                                     // 00000000324C: 923D4805
	s_add_u32 s60, s61, s60                                    // 000000003250: 803C3C3D
	s_add_u32 s24, s60, s24                                    // 000000003254: 8018183C
	s_addc_u32 s25, 0, s25                                     // 000000003258: 82191980
	s_mul_i32 s60, s7, 16                                      // 00000000325C: 923C9007
	s_mul_i32 s60, s60, s69                                    // 000000003260: 923C453C
	v_lshlrev_b32_e32 v44, 4, v0                               // 000000003264: 24580084
	v_add_u32_e32 v44, s60, v44                                // 000000003268: 6858583C
	s_mul_i32 s60, 64, s69                                     // 00000000326C: 923C45C0
	v_add_u32_e32 v45, s60, v44                                // 000000003270: 685A583C
	v_add_u32_e32 v46, s60, v45                                // 000000003274: 685C5A3C
	v_add_u32_e32 v47, s60, v46                                // 000000003278: 685E5C3C
	s_mov_b32 s92, s24                                         // 00000000327C: BEDC0018
	s_mov_b32 s93, s25                                         // 000000003280: BEDD0019
	s_mov_b32 s94, s26                                         // 000000003284: BEDE001A
	s_mov_b32 s95, s27                                         // 000000003288: BEDF001B
	s_mul_i32 s60, s69, s65                                    // 00000000328C: 923C4145
	s_add_u32 s92, s60, s92                                    // 000000003290: 805C5C3C
	s_addc_u32 s93, 0, s93                                     // 000000003294: 825D5D80
	s_mul_i32 s60, s2, 0x1000                                  // 000000003298: 923CFF02 00001000
	s_mul_i32 s61, s5, s73                                     // 0000000032A0: 923D4905
	s_add_u32 s60, s61, s60                                    // 0000000032A4: 803C3C3D
	s_add_u32 s12, s60, s12                                    // 0000000032A8: 800C0C3C
	s_addc_u32 s13, 0, s13                                     // 0000000032AC: 820D0D80
	s_mul_i32 s60, s7, 16                                      // 0000000032B0: 923C9007
	s_mul_i32 s60, s60, s70                                    // 0000000032B4: 923C463C
	v_lshlrev_b32_e32 v48, 4, v0                               // 0000000032B8: 24600084
	v_add_u32_e32 v48, s60, v48                                // 0000000032BC: 6860603C
	s_mul_i32 s60, 64, s70                                     // 0000000032C0: 923C46C0
	v_add_u32_e32 v49, s60, v48                                // 0000000032C4: 6862603C
	v_add_u32_e32 v50, s60, v49                                // 0000000032C8: 6864623C
	v_add_u32_e32 v51, s60, v50                                // 0000000032CC: 6866643C
	s_mul_i32 s60, s70, 0x100                                  // 0000000032D0: 923CFF46 00000100
	s_mov_b32 s78, 0x400                                       // 0000000032D8: BECE00FF 00000400
	s_mul_i32 s61, s78, 3                                      // 0000000032E0: 923D834E
	s_sub_u32 s56, s60, s61                                    // 0000000032E4: 80B83D3C
	s_mul_i32 s60, s3, 32                                      // 0000000032E8: 923CA003
	s_mul_i32 s60, 4, s60                                      // 0000000032EC: 923C3C84
	s_add_u32 s40, s60, s40                                    // 0000000032F0: 8028283C
	s_addc_u32 s41, 0, s41                                     // 0000000032F4: 82292980
	v_and_b32_e32 v56, 15, v0                                  // 0000000032F8: 2670008F
	v_lshlrev_b32_e32 v9, 2, v56                               // 0000000032FC: 24127082
	v_add_u32_e32 v10, 64, v9                                  // 000000003300: 681412C0
	s_lshr_b32 s60, s64, 7                                     // 000000003304: 8F3C8740
	s_mul_i32 s61, s60, 4                                      // 000000003308: 923D843C
	v_and_b32_e64 v11, v0, 1                                   // 00000000330C: D113000B 00010300
	v_mul_i32_i24_e64 v11, v11, s61                            // 000000003314: D106000B 00007B0B
	v_and_b32_e64 v56, v0, 3                                   // 00000000331C: D1130038 00010700
	v_lshrrev_b32_e32 v56, 1, v56                              // 000000003324: 20707081
	v_mul_i32_i24_e32 v56, 4, v56                              // 000000003328: 0C707084
	v_add_u32_e32 v11, v11, v56                                // 00000000332C: 6816710B
	s_lshr_b32 s60, s65, 7                                     // 000000003330: 8F3C8741
	s_mul_i32 s60, s60, s61                                    // 000000003334: 923C3D3C
	v_add_u32_e64 v13, v11, s60                                // 000000003338: D134000D 0000790B
	s_mov_b32 s4, 8                                            // 000000003340: BE840088
	s_mul_i32 s60, s2, 2                                       // 000000003344: 923C8202
	s_mul_i32 s60, s60, s61                                    // 000000003348: 923C3D3C
	s_mul_i32 s61, s5, s74                                     // 00000000334C: 923D4A05
	s_add_u32 s61, s61, s60                                    // 000000003350: 803D3C3D
	s_add_u32 s32, s61, s32                                    // 000000003354: 8020203D
	s_addc_u32 s33, 0, s33                                     // 000000003358: 82212180
	s_lshr_b32 s60, s65, 7                                     // 00000000335C: 8F3C8741
	s_mul_i32 s61, s60, 4                                      // 000000003360: 923D843C
	s_mul_i32 s60, s2, 2                                       // 000000003364: 923C8202
	s_mul_i32 s60, s60, 4                                      // 000000003368: 923C843C
	v_and_b32_e64 v6, v0, 1                                    // 00000000336C: D1130006 00010300
	v_mul_i32_i24_e64 v6, v6, s61                              // 000000003374: D1060006 00007B06
	v_and_b32_e64 v56, v0, 3                                   // 00000000337C: D1130038 00010700
	v_lshrrev_b32_e32 v56, 1, v56                              // 000000003384: 20707081
	v_mul_i32_i24_e32 v56, 4, v56                              // 000000003388: 0C707084
	v_add_i32 v6, v6, v56                                      // 00000000338C: D29C0006 00027106
	v_add_i32 v6, v6, s60                                      // 000000003394: D29C0006 00007906
	s_mul_i32 s60, s5, s75                                     // 00000000339C: 923C4B05
	s_add_u32 s16, s60, s16                                    // 0000000033A0: 8010103C
	s_addc_u32 s17, 0, s17                                     // 0000000033A4: 82111180
	s_mov_b32 s57, 0x100                                       // 0000000033A8: BEB900FF 00000100
	s_mov_b32 s58, 0x1000                                      // 0000000033B0: BEBA00FF 00001000
	s_mul_i32 s79, 2, s61                                      // 0000000033B8: 924F3D82
	s_mov_b32 s59, 0                                           // 0000000033BC: BEBB0080
	s_mov_b32 s90, s58                                         // 0000000033C0: BEDA003A
	s_mov_b32 s52, 0x7060302                                   // 0000000033C4: BEB400FF 07060302
	s_mov_b32 s53, 0x400                                       // 0000000033CC: BEB500FF 00000400
	s_mov_b32 s54, 0x40100                                     // 0000000033D4: BEB600FF 00040100
	s_mov_b32 s55, 0x4020100                                   // 0000000033DC: BEB700FF 04020100
	s_mov_b32 s6, 0x3fb8aa3b                                   // 0000000033E4: BE8600FF 3FB8AA3B
	s_mov_b32 s77, 0xbd92220c                                  // 0000000033EC: BECD00FF BD92220C
	s_mov_b32 m0, s50                                          // 0000000033F4: BEFC0032
	v_mov_b32_e32 v1, 0xbfcc4231                               // 0000000033F8: 7E0202FF BFCC4231
	v_mov_b32_e32 v53, 0xffff0000                              // 000000003400: 7E6A02FF FFFF0000
	v_mov_b32_e32 v54, 0x7fff0000                              // 000000003408: 7E6C02FF 7FFF0000
	v_mov_b32_e32 v55, 0x7fff                                  // 000000003410: 7E6E02FF 00007FFF
	s_waitcnt vmcnt(0) expcnt(0) lgkmcnt(0)                    // 000000003418: BF8C0000
	v_and_b32_e32 v7, 0xffffff, v7                             // 00000000341C: 260E0EFF 00FFFFFF
	v_and_b32_e32 v8, 0xffffff, v8                             // 000000003424: 261010FF 00FFFFFF
	v_lshlrev_b32_e32 v7, 2, v7                                // 00000000342C: 240E0E82
	v_lshlrev_b32_e32 v8, 2, v8                                // 000000003430: 24101082
	s_lshr_b32 s60, s7, 1                                      // 000000003434: 8F3C8107
	s_lshl_b32 s3, s66, 2                                      // 000000003438: 8E038242
	s_mul_i32 s60, s60, s3                                     // 00000000343C: 923C033C
	s_add_u32 s28, s28, s60                                    // 000000003440: 801C3C1C
	s_addc_u32 s29, 0, s29                                     // 000000003444: 821D1D80
	s_mov_b32 s30, s3                                          // 000000003448: BE9E0003
	s_lshl_b32 s3, s3, 1                                       // 00000000344C: 8E038103
	s_and_b32 s61, s7, 1                                       // 000000003450: 863D8107
	s_cmp_eq_u32 s61, 1                                        // 000000003454: BF06813D
	s_cselect_b32 s60, 0, 1                                    // 000000003458: 853C8180
	v_mul_i32_i24_e64 v56, v7, s60                             // 00000000345C: D1060038 00007907
	v_mul_i32_i24_e64 v57, v8, s61                             // 000000003464: D1060039 00007B08
	v_add_u32_e32 v56, v56, v57                                // 00000000346C: 68707338
	v_mov_b32_e32 v7, v56                                      // 000000003470: 7E0E0338
	s_mul_i32 s60, s7, 0x100                                   // 000000003474: 923CFF07 00000100
	s_sub_u32 s61, 4, s7                                       // 00000000347C: 80BD0784
	s_mul_i32 s61, s61, 0x820                                  // 000000003480: 923DFF3D 00000820
	s_add_u32 s76, s60, s61                                    // 000000003488: 804C3D3C
	v_lshlrev_b32_e32 v3, 2, v0                                // 00000000348C: 24060082
	buffer_load_dword v23, v11, s[32:35], 0 offen              // 000000003490: E0501000 8008170B
	buffer_load_dword v25, v9, s[40:43], 0 offen               // 000000003498: E0501000 800A1909
	buffer_load_dword v26, v10, s[40:43], 0 offen              // 0000000034A0: E0501000 800A1A0A
	buffer_load_dword v36, s[20:23], 0 offen lds               // 0000000034A8: E0511000 80050024
	s_add_u32 m0, 0x100, s50                                   // 0000000034B0: 807C32FF 00000100
	buffer_load_dword v37, s[20:23], 0 offen lds               // 0000000034B8: E0511000 80050025
	s_add_u32 m0, 0x200, s50                                   // 0000000034C0: 807C32FF 00000200
	buffer_load_dword v38, s[20:23], 0 offen lds               // 0000000034C8: E0511000 80050026
	s_add_u32 m0, 0x300, s50                                   // 0000000034D0: 807C32FF 00000300
	buffer_load_dword v39, s[20:23], 0 offen lds               // 0000000034D8: E0511000 80050027
	s_add_u32 m0, 0x400, s50                                   // 0000000034E0: 807C32FF 00000400
	buffer_load_dword v40, s[20:23], 0 offen lds               // 0000000034E8: E0511000 80050028
	s_add_u32 m0, 0x500, s50                                   // 0000000034F0: 807C32FF 00000500
	buffer_load_dword v41, s[20:23], 0 offen lds               // 0000000034F8: E0511000 80050029
	s_add_u32 m0, 0x600, s50                                   // 000000003500: 807C32FF 00000600
	buffer_load_dword v42, s[20:23], 0 offen lds               // 000000003508: E0511000 8005002A
	s_add_u32 m0, 0x700, s50                                   // 000000003510: 807C32FF 00000700
	buffer_load_dword v43, s[20:23], 0 offen lds               // 000000003518: E0511000 8005002B
	s_add_u32 m0, s50, s76                                     // 000000003520: 807C4C32
	buffer_load_dword v7, s[28:31], 0 offen lds                // 000000003524: E0511000 80070007
	s_add_u32 m0, 0, s51                                       // 00000000352C: 807C3380
	s_add_u32 s20, s57, s20                                    // 000000003530: 80141439
	s_addc_u32 s21, 0, s21                                     // 000000003534: 82151580
	s_add_u32 s28, s3, s28                                     // 000000003538: 801C1C03
	s_addc_u32 s29, 0, s29                                     // 00000000353C: 821D1D80
	buffer_load_dwordx4 a[0:3], v44, s[24:27], 0 offen         // 000000003540: E05C1000 8086002C
	buffer_load_dwordx4 a[4:7], v44, s[24:27], 0 offen offset:1024// 000000003548: E05C1400 8086042C
	buffer_load_dwordx4 a[16:19], v45, s[24:27], 0 offen       // 000000003550: E05C1000 8086102D
	buffer_load_dwordx4 a[20:23], v45, s[24:27], 0 offen offset:1024// 000000003558: E05C1400 8086142D
	buffer_load_dwordx4 a[32:35], v46, s[24:27], 0 offen       // 000000003560: E05C1000 8086202E
	buffer_load_dwordx4 a[36:39], v46, s[24:27], 0 offen offset:1024// 000000003568: E05C1400 8086242E
	buffer_load_dwordx4 a[48:51], v47, s[24:27], 0 offen       // 000000003570: E05C1000 8086302F
	buffer_load_dwordx4 a[52:55], v47, s[24:27], 0 offen offset:1024// 000000003578: E05C1400 8086342F
	buffer_load_dwordx4 a[8:11], v44, s[24:27], 0 offen offset:2048// 000000003580: E05C1800 8086082C
	buffer_load_dwordx4 a[12:15], v44, s[24:27], 0 offen offset:3072// 000000003588: E05C1C00 80860C2C
	buffer_load_dwordx4 a[24:27], v45, s[24:27], 0 offen offset:2048// 000000003590: E05C1800 8086182D
	buffer_load_dwordx4 a[28:31], v45, s[24:27], 0 offen offset:3072// 000000003598: E05C1C00 80861C2D
	buffer_load_dwordx4 a[40:43], v46, s[24:27], 0 offen offset:2048// 0000000035A0: E05C1800 8086282E
	buffer_load_dwordx4 a[44:47], v46, s[24:27], 0 offen offset:3072// 0000000035A8: E05C1C00 80862C2E
	buffer_load_dwordx4 a[56:59], v47, s[24:27], 0 offen offset:2048// 0000000035B0: E05C1800 8086382F
	buffer_load_dwordx4 a[60:63], v47, s[24:27], 0 offen offset:3072// 0000000035B8: E05C1C00 80863C2F
	s_add_u32 s24, s58, s24                                    // 0000000035C0: 8018183A
	s_addc_u32 s25, 0, s25                                     // 0000000035C4: 82191980
	v_mov_b32_e32 v128, 0                                      // 0000000035C8: 7F000280
	v_mov_b32_e32 v64, 0                                       // 0000000035CC: 7E800280
	v_mov_b32_e32 v129, 0                                      // 0000000035D0: 7F020280
	v_mov_b32_e32 v65, 0                                       // 0000000035D4: 7E820280
	v_mov_b32_e32 v130, 0                                      // 0000000035D8: 7F040280
	v_mov_b32_e32 v66, 0                                       // 0000000035DC: 7E840280
	v_mov_b32_e32 v131, 0                                      // 0000000035E0: 7F060280
	v_mov_b32_e32 v67, 0                                       // 0000000035E4: 7E860280
	v_mov_b32_e32 v132, 0                                      // 0000000035E8: 7F080280
	v_mov_b32_e32 v68, 0                                       // 0000000035EC: 7E880280
	v_mov_b32_e32 v133, 0                                      // 0000000035F0: 7F0A0280
	v_mov_b32_e32 v69, 0                                       // 0000000035F4: 7E8A0280
	v_mov_b32_e32 v134, 0                                      // 0000000035F8: 7F0C0280
	v_mov_b32_e32 v70, 0                                       // 0000000035FC: 7E8C0280
	v_mov_b32_e32 v135, 0                                      // 000000003600: 7F0E0280
	v_mov_b32_e32 v71, 0                                       // 000000003604: 7E8E0280
	v_mov_b32_e32 v136, 0                                      // 000000003608: 7F100280
	v_mov_b32_e32 v72, 0                                       // 00000000360C: 7E900280
	v_mov_b32_e32 v137, 0                                      // 000000003610: 7F120280
	v_mov_b32_e32 v73, 0                                       // 000000003614: 7E920280
	v_mov_b32_e32 v138, 0                                      // 000000003618: 7F140280
	v_mov_b32_e32 v74, 0                                       // 00000000361C: 7E940280
	v_mov_b32_e32 v139, 0                                      // 000000003620: 7F160280
	v_mov_b32_e32 v75, 0                                       // 000000003624: 7E960280
	v_mov_b32_e32 v140, 0                                      // 000000003628: 7F180280
	v_mov_b32_e32 v76, 0                                       // 00000000362C: 7E980280
	v_mov_b32_e32 v141, 0                                      // 000000003630: 7F1A0280
	v_mov_b32_e32 v77, 0                                       // 000000003634: 7E9A0280
	v_mov_b32_e32 v142, 0                                      // 000000003638: 7F1C0280
	v_mov_b32_e32 v78, 0                                       // 00000000363C: 7E9C0280
	v_mov_b32_e32 v143, 0                                      // 000000003640: 7F1E0280
	v_mov_b32_e32 v79, 0                                       // 000000003644: 7E9E0280
	v_mov_b32_e32 v144, 0                                      // 000000003648: 7F200280
	v_mov_b32_e32 v80, 0                                       // 00000000364C: 7EA00280
	v_mov_b32_e32 v145, 0                                      // 000000003650: 7F220280
	v_mov_b32_e32 v81, 0                                       // 000000003654: 7EA20280
	v_mov_b32_e32 v146, 0                                      // 000000003658: 7F240280
	v_mov_b32_e32 v82, 0                                       // 00000000365C: 7EA40280
	v_mov_b32_e32 v147, 0                                      // 000000003660: 7F260280
	v_mov_b32_e32 v83, 0                                       // 000000003664: 7EA60280
	v_mov_b32_e32 v148, 0                                      // 000000003668: 7F280280
	v_mov_b32_e32 v84, 0                                       // 00000000366C: 7EA80280
	v_mov_b32_e32 v149, 0                                      // 000000003670: 7F2A0280
	v_mov_b32_e32 v85, 0                                       // 000000003674: 7EAA0280
	v_mov_b32_e32 v150, 0                                      // 000000003678: 7F2C0280
	v_mov_b32_e32 v86, 0                                       // 00000000367C: 7EAC0280
	v_mov_b32_e32 v151, 0                                      // 000000003680: 7F2E0280
	v_mov_b32_e32 v87, 0                                       // 000000003684: 7EAE0280
	v_mov_b32_e32 v152, 0                                      // 000000003688: 7F300280
	v_mov_b32_e32 v88, 0                                       // 00000000368C: 7EB00280
	v_mov_b32_e32 v153, 0                                      // 000000003690: 7F320280
	v_mov_b32_e32 v89, 0                                       // 000000003694: 7EB20280
	v_mov_b32_e32 v154, 0                                      // 000000003698: 7F340280
	v_mov_b32_e32 v90, 0                                       // 00000000369C: 7EB40280
	v_mov_b32_e32 v155, 0                                      // 0000000036A0: 7F360280
	v_mov_b32_e32 v91, 0                                       // 0000000036A4: 7EB60280
	v_mov_b32_e32 v156, 0                                      // 0000000036A8: 7F380280
	v_mov_b32_e32 v92, 0                                       // 0000000036AC: 7EB80280
	v_mov_b32_e32 v157, 0                                      // 0000000036B0: 7F3A0280
	v_mov_b32_e32 v93, 0                                       // 0000000036B4: 7EBA0280
	v_mov_b32_e32 v158, 0                                      // 0000000036B8: 7F3C0280
	v_mov_b32_e32 v94, 0                                       // 0000000036BC: 7EBC0280
	v_mov_b32_e32 v159, 0                                      // 0000000036C0: 7F3E0280
	v_mov_b32_e32 v95, 0                                       // 0000000036C4: 7EBE0280
	v_mov_b32_e32 v160, 0                                      // 0000000036C8: 7F400280
	v_mov_b32_e32 v96, 0                                       // 0000000036CC: 7EC00280
	v_mov_b32_e32 v161, 0                                      // 0000000036D0: 7F420280
	v_mov_b32_e32 v97, 0                                       // 0000000036D4: 7EC20280
	v_mov_b32_e32 v162, 0                                      // 0000000036D8: 7F440280
	v_mov_b32_e32 v98, 0                                       // 0000000036DC: 7EC40280
	v_mov_b32_e32 v163, 0                                      // 0000000036E0: 7F460280
	v_mov_b32_e32 v99, 0                                       // 0000000036E4: 7EC60280
	v_mov_b32_e32 v164, 0                                      // 0000000036E8: 7F480280
	v_mov_b32_e32 v100, 0                                      // 0000000036EC: 7EC80280
	v_mov_b32_e32 v165, 0                                      // 0000000036F0: 7F4A0280
	v_mov_b32_e32 v101, 0                                      // 0000000036F4: 7ECA0280
	v_mov_b32_e32 v166, 0                                      // 0000000036F8: 7F4C0280
	v_mov_b32_e32 v102, 0                                      // 0000000036FC: 7ECC0280
	v_mov_b32_e32 v167, 0                                      // 000000003700: 7F4E0280
	v_mov_b32_e32 v103, 0                                      // 000000003704: 7ECE0280
	v_mov_b32_e32 v168, 0                                      // 000000003708: 7F500280
	v_mov_b32_e32 v104, 0                                      // 00000000370C: 7ED00280
	v_mov_b32_e32 v169, 0                                      // 000000003710: 7F520280
	v_mov_b32_e32 v105, 0                                      // 000000003714: 7ED20280
	v_mov_b32_e32 v170, 0                                      // 000000003718: 7F540280
	v_mov_b32_e32 v106, 0                                      // 00000000371C: 7ED40280
	v_mov_b32_e32 v171, 0                                      // 000000003720: 7F560280
	v_mov_b32_e32 v107, 0                                      // 000000003724: 7ED60280
	v_mov_b32_e32 v172, 0                                      // 000000003728: 7F580280
	v_mov_b32_e32 v108, 0                                      // 00000000372C: 7ED80280
	v_mov_b32_e32 v173, 0                                      // 000000003730: 7F5A0280
	v_mov_b32_e32 v109, 0                                      // 000000003734: 7EDA0280
	v_mov_b32_e32 v174, 0                                      // 000000003738: 7F5C0280
	v_mov_b32_e32 v110, 0                                      // 00000000373C: 7EDC0280
	v_mov_b32_e32 v175, 0                                      // 000000003740: 7F5E0280
	v_mov_b32_e32 v111, 0                                      // 000000003744: 7EDE0280
	v_mov_b32_e32 v176, 0                                      // 000000003748: 7F600280
	v_mov_b32_e32 v112, 0                                      // 00000000374C: 7EE00280
	v_mov_b32_e32 v177, 0                                      // 000000003750: 7F620280
	v_mov_b32_e32 v113, 0                                      // 000000003754: 7EE20280
	v_mov_b32_e32 v178, 0                                      // 000000003758: 7F640280
	v_mov_b32_e32 v114, 0                                      // 00000000375C: 7EE40280
	v_mov_b32_e32 v179, 0                                      // 000000003760: 7F660280
	v_mov_b32_e32 v115, 0                                      // 000000003764: 7EE60280
	v_mov_b32_e32 v180, 0                                      // 000000003768: 7F680280
	v_mov_b32_e32 v116, 0                                      // 00000000376C: 7EE80280
	v_mov_b32_e32 v181, 0                                      // 000000003770: 7F6A0280
	v_mov_b32_e32 v117, 0                                      // 000000003774: 7EEA0280
	v_mov_b32_e32 v182, 0                                      // 000000003778: 7F6C0280
	v_mov_b32_e32 v118, 0                                      // 00000000377C: 7EEC0280
	v_mov_b32_e32 v183, 0                                      // 000000003780: 7F6E0280
	v_mov_b32_e32 v119, 0                                      // 000000003784: 7EEE0280
	v_mov_b32_e32 v184, 0                                      // 000000003788: 7F700280
	v_mov_b32_e32 v120, 0                                      // 00000000378C: 7EF00280
	v_mov_b32_e32 v185, 0                                      // 000000003790: 7F720280
	v_mov_b32_e32 v121, 0                                      // 000000003794: 7EF20280
	v_mov_b32_e32 v186, 0                                      // 000000003798: 7F740280
	v_mov_b32_e32 v122, 0                                      // 00000000379C: 7EF40280
	v_mov_b32_e32 v187, 0                                      // 0000000037A0: 7F760280
	v_mov_b32_e32 v123, 0                                      // 0000000037A4: 7EF60280
	v_mov_b32_e32 v188, 0                                      // 0000000037A8: 7F780280
	v_mov_b32_e32 v124, 0                                      // 0000000037AC: 7EF80280
	v_mov_b32_e32 v189, 0                                      // 0000000037B0: 7F7A0280
	v_mov_b32_e32 v125, 0                                      // 0000000037B4: 7EFA0280
	v_mov_b32_e32 v190, 0                                      // 0000000037B8: 7F7C0280
	v_mov_b32_e32 v126, 0                                      // 0000000037BC: 7EFC0280
	v_mov_b32_e32 v191, 0                                      // 0000000037C0: 7F7E0280
	v_mov_b32_e32 v127, 0                                      // 0000000037C4: 7EFE0280
	v_lshrrev_b32_e32 v56, 4, v0                               // 0000000037C8: 20700084
	v_mul_i32_i24_e32 v4, 34, v56                              // 0000000037CC: 0C0870A2
	v_and_b32_e32 v56, 15, v0                                  // 0000000037D0: 2670008F
	v_mul_i32_i24_e32 v57, 2, v56                              // 0000000037D4: 0C727082
	v_add_u32_e32 v4, v57, v4                                  // 0000000037D8: 68080939
	s_mul_i32 s60, s7, 0x88                                    // 0000000037DC: 923CFF07 00000088
	v_add_u32_e32 v4, s60, v4                                  // 0000000037E4: 6808083C
	v_lshlrev_b32_e32 v4, 2, v4                                // 0000000037E8: 24080882
	v_lshrrev_b32_e32 v56, 1, v0                               // 0000000037EC: 20700081
	v_mul_i32_i24_e32 v5, 34, v56                              // 0000000037F0: 0C0A70A2
	v_and_b32_e32 v57, 1, v0                                   // 0000000037F4: 26720081
	v_add_u32_e32 v5, v57, v5                                  // 0000000037F8: 680A0B39
	s_mul_i32 s60, s7, 2                                       // 0000000037FC: 923C8207
	v_add_u32_e32 v5, s60, v5                                  // 000000003800: 680A0A3C
	v_lshlrev_b32_e32 v5, 2, v5                                // 000000003804: 240A0A82
	s_waitcnt vmcnt(16)                                        // 000000003808: BF8C4F70
	s_barrier                                                  // 00000000380C: BF8A0000
	ds_read_b128 v[192:195], v2                                // 000000003810: D9FE0000 C0000002
	ds_read_b128 v[196:199], v2 offset:64                      // 000000003818: D9FE0040 C4000002
	ds_read_b128 v[200:203], v2 offset:128                     // 000000003820: D9FE0080 C8000002
	ds_read_b128 v[204:207], v2 offset:192                     // 000000003828: D9FE00C0 CC000002
	ds_read_b128 v[208:211], v2 offset:1024                    // 000000003830: D9FE0400 D0000002
	ds_read_b128 v[212:215], v2 offset:1088                    // 000000003838: D9FE0440 D4000002
	ds_read_b128 v[216:219], v2 offset:1152                    // 000000003840: D9FE0480 D8000002
	ds_read_b128 v[220:223], v2 offset:1216                    // 000000003848: D9FE04C0 DC000002
	ds_read_b32 v15, v3 offset:8320                            // 000000003850: D86C2080 0F000003
	ds_read_b32 v16, v3 offset:8576                            // 000000003858: D86C2180 10000003
	ds_read_b32 v17, v3 offset:8832                            // 000000003860: D86C2280 11000003
	ds_read_b32 v18, v3 offset:9088                            // 000000003868: D86C2380 12000003
	s_cmp_lt_i32 s7, 2                                         // 000000003870: BF048207
	s_cbranch_scc0 label_0DCC                                  // 000000003874: BF840B2E

0000000000003878 <label_029E>:
	s_waitcnt vmcnt(8) lgkmcnt(0)                              // 000000003878: BF8C0078
	s_barrier                                                  // 00000000387C: BF8A0000
	v_mfma_f32_16x16x32_fp8_fp8 v[160:163], a[0:1], v[192:193], 0// 000000003880: D3F300A0 0A038100
	v_mfma_f32_16x16x32_fp8_fp8 v[160:163], a[2:3], v[194:195], v[160:163]// 000000003888: D3F300A0 0E838502
	buffer_load_dwordx4 a[64:67], v44, s[92:95], 0 offen       // 000000003890: E05C1000 8097402C
	v_mfma_f32_16x16x32_fp8_fp8 v[160:163], a[4:5], v[196:197], v[160:163]// 000000003898: D3F300A0 0E838904
	v_mfma_f32_16x16x32_fp8_fp8 v[160:163], a[6:7], v[198:199], v[160:163]// 0000000038A0: D3F300A0 0E838D06
	buffer_load_dword v36, s[20:23], 0 offen lds               // 0000000038A8: E0511000 80050024
	s_add_u32 m0, 0x100, s51                                   // 0000000038B0: 807C33FF 00000100
	v_mfma_f32_16x16x32_fp8_fp8 v[164:167], a[0:1], v[208:209], 0// 0000000038B8: D3F300A4 0A03A100
	v_mfma_f32_16x16x32_fp8_fp8 v[164:167], a[2:3], v[210:211], v[164:167]// 0000000038C0: D3F300A4 0E93A502
	buffer_load_dwordx4 a[68:71], v44, s[92:95], 0 offen offset:1024// 0000000038C8: E05C1400 8097442C
	v_mfma_f32_16x16x32_fp8_fp8 v[164:167], a[4:5], v[212:213], v[164:167]// 0000000038D0: D3F300A4 0E93A904
	v_mfma_f32_16x16x32_fp8_fp8 v[164:167], a[6:7], v[214:215], v[164:167]// 0000000038D8: D3F300A4 0E93AD06
	buffer_load_dword v37, s[20:23], 0 offen lds               // 0000000038E0: E0511000 80050025
	s_add_u32 m0, 0x200, s51                                   // 0000000038E8: 807C33FF 00000200
	v_mfma_f32_16x16x32_fp8_fp8 v[168:171], a[16:17], v[192:193], 0// 0000000038F0: D3F300A8 0A038110
	v_mfma_f32_16x16x32_fp8_fp8 v[168:171], a[18:19], v[194:195], v[168:171]// 0000000038F8: D3F300A8 0EA38512
	buffer_load_dwordx4 a[80:83], v45, s[92:95], 0 offen       // 000000003900: E05C1000 8097502D
	v_mfma_f32_16x16x32_fp8_fp8 v[168:171], a[20:21], v[196:197], v[168:171]// 000000003908: D3F300A8 0EA38914
	v_mfma_f32_16x16x32_fp8_fp8 v[168:171], a[22:23], v[198:199], v[168:171]// 000000003910: D3F300A8 0EA38D16
	buffer_load_dword v38, s[20:23], 0 offen lds               // 000000003918: E0511000 80050026
	s_add_u32 m0, 0x300, s51                                   // 000000003920: 807C33FF 00000300
	v_mfma_f32_16x16x32_fp8_fp8 v[172:175], a[16:17], v[208:209], 0// 000000003928: D3F300AC 0A03A110
	v_mfma_f32_16x16x32_fp8_fp8 v[172:175], a[18:19], v[210:211], v[172:175]// 000000003930: D3F300AC 0EB3A512
	buffer_load_dwordx4 a[84:87], v45, s[92:95], 0 offen offset:1024// 000000003938: E05C1400 8097542D
	v_mfma_f32_16x16x32_fp8_fp8 v[172:175], a[20:21], v[212:213], v[172:175]// 000000003940: D3F300AC 0EB3A914
	v_mfma_f32_16x16x32_fp8_fp8 v[172:175], a[22:23], v[214:215], v[172:175]// 000000003948: D3F300AC 0EB3AD16
	buffer_load_dword v39, s[20:23], 0 offen lds               // 000000003950: E0511000 80050027
	s_add_u32 m0, 0x400, s51                                   // 000000003958: 807C33FF 00000400
	v_mfma_f32_16x16x32_fp8_fp8 v[176:179], a[32:33], v[192:193], 0// 000000003960: D3F300B0 0A038120
	v_mfma_f32_16x16x32_fp8_fp8 v[176:179], a[34:35], v[194:195], v[176:179]// 000000003968: D3F300B0 0EC38522
	buffer_load_dwordx4 a[96:99], v46, s[92:95], 0 offen       // 000000003970: E05C1000 8097602E
	v_mfma_f32_16x16x32_fp8_fp8 v[176:179], a[36:37], v[196:197], v[176:179]// 000000003978: D3F300B0 0EC38924
	v_mfma_f32_16x16x32_fp8_fp8 v[176:179], a[38:39], v[198:199], v[176:179]// 000000003980: D3F300B0 0EC38D26
	buffer_load_dword v40, s[20:23], 0 offen lds               // 000000003988: E0511000 80050028
	s_add_u32 m0, 0x500, s51                                   // 000000003990: 807C33FF 00000500
	v_mfma_f32_16x16x32_fp8_fp8 v[180:183], a[32:33], v[208:209], 0// 000000003998: D3F300B4 0A03A120
	v_mfma_f32_16x16x32_fp8_fp8 v[180:183], a[34:35], v[210:211], v[180:183]// 0000000039A0: D3F300B4 0ED3A522
	buffer_load_dwordx4 a[100:103], v46, s[92:95], 0 offen offset:1024// 0000000039A8: E05C1400 8097642E
	v_mfma_f32_16x16x32_fp8_fp8 v[180:183], a[36:37], v[212:213], v[180:183]// 0000000039B0: D3F300B4 0ED3A924
	v_mfma_f32_16x16x32_fp8_fp8 v[180:183], a[38:39], v[214:215], v[180:183]// 0000000039B8: D3F300B4 0ED3AD26
	buffer_load_dword v41, s[20:23], 0 offen lds               // 0000000039C0: E0511000 80050029
	s_add_u32 m0, 0x600, s51                                   // 0000000039C8: 807C33FF 00000600
	v_mfma_f32_16x16x32_fp8_fp8 v[184:187], a[48:49], v[192:193], 0// 0000000039D0: D3F300B8 0A038130
	v_mfma_f32_16x16x32_fp8_fp8 v[184:187], a[50:51], v[194:195], v[184:187]// 0000000039D8: D3F300B8 0EE38532
	buffer_load_dwordx4 a[112:115], v47, s[92:95], 0 offen     // 0000000039E0: E05C1000 8097702F
	v_mfma_f32_16x16x32_fp8_fp8 v[184:187], a[52:53], v[196:197], v[184:187]// 0000000039E8: D3F300B8 0EE38934
	v_mfma_f32_16x16x32_fp8_fp8 v[184:187], a[54:55], v[198:199], v[184:187]// 0000000039F0: D3F300B8 0EE38D36
	buffer_load_dword v42, s[20:23], 0 offen lds               // 0000000039F8: E0511000 8005002A
	s_add_u32 m0, 0x700, s51                                   // 000000003A00: 807C33FF 00000700
	v_mfma_f32_16x16x32_fp8_fp8 v[188:191], a[48:49], v[208:209], 0// 000000003A08: D3F300BC 0A03A130
	v_mfma_f32_16x16x32_fp8_fp8 v[188:191], a[50:51], v[210:211], v[188:191]// 000000003A10: D3F300BC 0EF3A532
	buffer_load_dwordx4 a[116:119], v47, s[92:95], 0 offen offset:1024// 000000003A18: E05C1400 8097742F
	v_mfma_f32_16x16x32_fp8_fp8 v[188:191], a[52:53], v[212:213], v[188:191]// 000000003A20: D3F300BC 0EF3A934
	v_mfma_f32_16x16x32_fp8_fp8 v[188:191], a[54:55], v[214:215], v[188:191]// 000000003A28: D3F300BC 0EF3AD36
	buffer_load_dword v43, s[20:23], 0 offen lds               // 000000003A30: E0511000 8005002B
	s_add_u32 m0, s51, s76                                     // 000000003A38: 807C4C33
	buffer_load_dword v7, s[28:31], 0 offen lds                // 000000003A3C: E0511000 80070007
	s_add_u32 m0, 0, s50                                       // 000000003A44: 807C3280
	buffer_load_dword v24, v13, s[32:35], 0 offen              // 000000003A48: E0501000 8008180D
	v_mul_f32_dpp v56, v23, v15 row_newbcast:0 row_mask:0xf bank_mask:0xf// 000000003A50: 0A701EFA FF015017
	v_mov_b32_e32 v57, v56                                     // 000000003A58: 7E720338
	v_pk_fma_f32 v[128:129], v[160:161], v[56:57], v[128:129]  // 000000003A5C: D3B04080 1E0271A0
	v_pk_fma_f32 v[130:131], v[162:163], v[56:57], v[130:131]  // 000000003A64: D3B04082 1E0A71A2
	v_pk_fma_f32 v[136:137], v[168:169], v[56:57], v[136:137]  // 000000003A6C: D3B04088 1E2271A8
	v_pk_fma_f32 v[138:139], v[170:171], v[56:57], v[138:139]  // 000000003A74: D3B0408A 1E2A71AA
	v_mul_f32_dpp v56, v23, v15 row_newbcast:1 row_mask:0xf bank_mask:0xf// 000000003A7C: 0A701EFA FF015117
	v_mov_b32_e32 v57, v56                                     // 000000003A84: 7E720338
	v_pk_fma_f32 v[144:145], v[176:177], v[56:57], v[144:145]  // 000000003A88: D3B04090 1E4271B0
	v_pk_fma_f32 v[146:147], v[178:179], v[56:57], v[146:147]  // 000000003A90: D3B04092 1E4A71B2
	v_pk_fma_f32 v[152:153], v[184:185], v[56:57], v[152:153]  // 000000003A98: D3B04098 1E6271B8
	v_pk_fma_f32 v[154:155], v[186:187], v[56:57], v[154:155]  // 000000003AA0: D3B0409A 1E6A71BA
	v_mul_f32_dpp v56, v23, v16 row_newbcast:0 row_mask:0xf bank_mask:0xf// 000000003AA8: 0A7020FA FF015017
	v_mov_b32_e32 v57, v56                                     // 000000003AB0: 7E720338
	v_pk_fma_f32 v[132:133], v[164:165], v[56:57], v[132:133]  // 000000003AB4: D3B04084 1E1271A4
	v_pk_fma_f32 v[134:135], v[166:167], v[56:57], v[134:135]  // 000000003ABC: D3B04086 1E1A71A6
	v_pk_fma_f32 v[140:141], v[172:173], v[56:57], v[140:141]  // 000000003AC4: D3B0408C 1E3271AC
	v_pk_fma_f32 v[142:143], v[174:175], v[56:57], v[142:143]  // 000000003ACC: D3B0408E 1E3A71AE
	v_mul_f32_dpp v56, v23, v16 row_newbcast:1 row_mask:0xf bank_mask:0xf// 000000003AD4: 0A7020FA FF015117
	v_mov_b32_e32 v57, v56                                     // 000000003ADC: 7E720338
	v_pk_fma_f32 v[148:149], v[180:181], v[56:57], v[148:149]  // 000000003AE0: D3B04094 1E5271B4
	v_pk_fma_f32 v[150:151], v[182:183], v[56:57], v[150:151]  // 000000003AE8: D3B04096 1E5A71B6
	v_pk_fma_f32 v[156:157], v[188:189], v[56:57], v[156:157]  // 000000003AF0: D3B0409C 1E7271BC
	v_pk_fma_f32 v[158:159], v[190:191], v[56:57], v[158:159]  // 000000003AF8: D3B0409E 1E7A71BE
	s_waitcnt vmcnt(22)                                        // 000000003B00: BF8C4F76
	v_mfma_f32_16x16x32_fp8_fp8 v[160:163], a[8:9], v[200:201], 0// 000000003B04: D3F300A0 0A039108
	v_mfma_f32_16x16x32_fp8_fp8 v[160:163], a[10:11], v[202:203], v[160:163]// 000000003B0C: D3F300A0 0E83950A
	buffer_load_dwordx4 a[72:75], v44, s[92:95], 0 offen offset:2048// 000000003B14: E05C1800 8097482C
	v_mfma_f32_16x16x32_fp8_fp8 v[160:163], a[12:13], v[204:205], v[160:163]// 000000003B1C: D3F300A0 0E83990C
	v_mfma_f32_16x16x32_fp8_fp8 v[160:163], a[14:15], v[206:207], v[160:163]// 000000003B24: D3F300A0 0E839D0E
	v_mfma_f32_16x16x32_fp8_fp8 v[164:167], a[8:9], v[216:217], 0// 000000003B2C: D3F300A4 0A03B108
	v_mfma_f32_16x16x32_fp8_fp8 v[164:167], a[10:11], v[218:219], v[164:167]// 000000003B34: D3F300A4 0E93B50A
	buffer_load_dwordx4 a[76:79], v44, s[92:95], 0 offen offset:3072// 000000003B3C: E05C1C00 80974C2C
	v_mfma_f32_16x16x32_fp8_fp8 v[164:167], a[12:13], v[220:221], v[164:167]// 000000003B44: D3F300A4 0E93B90C
	v_mfma_f32_16x16x32_fp8_fp8 v[164:167], a[14:15], v[222:223], v[164:167]// 000000003B4C: D3F300A4 0E93BD0E
	v_mfma_f32_16x16x32_fp8_fp8 v[168:171], a[24:25], v[200:201], 0// 000000003B54: D3F300A8 0A039118
	v_mfma_f32_16x16x32_fp8_fp8 v[168:171], a[26:27], v[202:203], v[168:171]// 000000003B5C: D3F300A8 0EA3951A
	buffer_load_dwordx4 a[88:91], v45, s[92:95], 0 offen offset:2048// 000000003B64: E05C1800 8097582D
	v_mfma_f32_16x16x32_fp8_fp8 v[168:171], a[28:29], v[204:205], v[168:171]// 000000003B6C: D3F300A8 0EA3991C
	v_mfma_f32_16x16x32_fp8_fp8 v[168:171], a[30:31], v[206:207], v[168:171]// 000000003B74: D3F300A8 0EA39D1E
	v_mfma_f32_16x16x32_fp8_fp8 v[172:175], a[24:25], v[216:217], 0// 000000003B7C: D3F300AC 0A03B118
	v_mfma_f32_16x16x32_fp8_fp8 v[172:175], a[26:27], v[218:219], v[172:175]// 000000003B84: D3F300AC 0EB3B51A
	buffer_load_dwordx4 a[92:95], v45, s[92:95], 0 offen offset:3072// 000000003B8C: E05C1C00 80975C2D
	v_mfma_f32_16x16x32_fp8_fp8 v[172:175], a[28:29], v[220:221], v[172:175]// 000000003B94: D3F300AC 0EB3B91C
	v_mfma_f32_16x16x32_fp8_fp8 v[172:175], a[30:31], v[222:223], v[172:175]// 000000003B9C: D3F300AC 0EB3BD1E
	s_waitcnt vmcnt(22)                                        // 000000003BA4: BF8C4F76
	v_mfma_f32_16x16x32_fp8_fp8 v[176:179], a[40:41], v[200:201], 0// 000000003BA8: D3F300B0 0A039128
	v_mfma_f32_16x16x32_fp8_fp8 v[176:179], a[42:43], v[202:203], v[176:179]// 000000003BB0: D3F300B0 0EC3952A
	buffer_load_dwordx4 a[104:107], v46, s[92:95], 0 offen offset:2048// 000000003BB8: E05C1800 8097682E
	v_mfma_f32_16x16x32_fp8_fp8 v[176:179], a[44:45], v[204:205], v[176:179]// 000000003BC0: D3F300B0 0EC3992C
	v_mfma_f32_16x16x32_fp8_fp8 v[176:179], a[46:47], v[206:207], v[176:179]// 000000003BC8: D3F300B0 0EC39D2E
	v_mfma_f32_16x16x32_fp8_fp8 v[180:183], a[40:41], v[216:217], 0// 000000003BD0: D3F300B4 0A03B128
	v_mfma_f32_16x16x32_fp8_fp8 v[180:183], a[42:43], v[218:219], v[180:183]// 000000003BD8: D3F300B4 0ED3B52A
	buffer_load_dwordx4 a[108:111], v46, s[92:95], 0 offen offset:3072// 000000003BE0: E05C1C00 80976C2E
	v_mfma_f32_16x16x32_fp8_fp8 v[180:183], a[44:45], v[220:221], v[180:183]// 000000003BE8: D3F300B4 0ED3B92C
	v_mfma_f32_16x16x32_fp8_fp8 v[180:183], a[46:47], v[222:223], v[180:183]// 000000003BF0: D3F300B4 0ED3BD2E
	v_mfma_f32_16x16x32_fp8_fp8 v[184:187], a[56:57], v[200:201], 0// 000000003BF8: D3F300B8 0A039138
	v_mfma_f32_16x16x32_fp8_fp8 v[184:187], a[58:59], v[202:203], v[184:187]// 000000003C00: D3F300B8 0EE3953A
	buffer_load_dwordx4 a[120:123], v47, s[92:95], 0 offen offset:2048// 000000003C08: E05C1800 8097782F
	v_mfma_f32_16x16x32_fp8_fp8 v[184:187], a[60:61], v[204:205], v[184:187]// 000000003C10: D3F300B8 0EE3993C
	v_mfma_f32_16x16x32_fp8_fp8 v[184:187], a[62:63], v[206:207], v[184:187]// 000000003C18: D3F300B8 0EE39D3E
	v_mfma_f32_16x16x32_fp8_fp8 v[188:191], a[56:57], v[216:217], 0// 000000003C20: D3F300BC 0A03B138
	v_mfma_f32_16x16x32_fp8_fp8 v[188:191], a[58:59], v[218:219], v[188:191]// 000000003C28: D3F300BC 0EF3B53A
	buffer_load_dwordx4 a[124:127], v47, s[92:95], 0 offen offset:3072// 000000003C30: E05C1C00 80977C2F
	v_mfma_f32_16x16x32_fp8_fp8 v[188:191], a[60:61], v[220:221], v[188:191]// 000000003C38: D3F300BC 0EF3B93C
	v_mfma_f32_16x16x32_fp8_fp8 v[188:191], a[62:63], v[222:223], v[188:191]// 000000003C40: D3F300BC 0EF3BD3E
	v_mul_f32_dpp v56, v23, v17 row_newbcast:2 row_mask:0xf bank_mask:0xf// 000000003C48: 0A7022FA FF015217
	v_mov_b32_e32 v57, v56                                     // 000000003C50: 7E720338
	v_pk_fma_f32 v[128:129], v[160:161], v[56:57], v[128:129]  // 000000003C54: D3B04080 1E0271A0
	v_pk_fma_f32 v[130:131], v[162:163], v[56:57], v[130:131]  // 000000003C5C: D3B04082 1E0A71A2
	v_pk_fma_f32 v[136:137], v[168:169], v[56:57], v[136:137]  // 000000003C64: D3B04088 1E2271A8
	v_pk_fma_f32 v[138:139], v[170:171], v[56:57], v[138:139]  // 000000003C6C: D3B0408A 1E2A71AA
	v_mul_f32_dpp v56, v23, v17 row_newbcast:3 row_mask:0xf bank_mask:0xf// 000000003C74: 0A7022FA FF015317
	v_mov_b32_e32 v57, v56                                     // 000000003C7C: 7E720338
	v_pk_fma_f32 v[144:145], v[176:177], v[56:57], v[144:145]  // 000000003C80: D3B04090 1E4271B0
	v_pk_fma_f32 v[146:147], v[178:179], v[56:57], v[146:147]  // 000000003C88: D3B04092 1E4A71B2
	v_pk_fma_f32 v[152:153], v[184:185], v[56:57], v[152:153]  // 000000003C90: D3B04098 1E6271B8
	v_pk_fma_f32 v[154:155], v[186:187], v[56:57], v[154:155]  // 000000003C98: D3B0409A 1E6A71BA
	v_mul_f32_dpp v56, v23, v18 row_newbcast:2 row_mask:0xf bank_mask:0xf// 000000003CA0: 0A7024FA FF015217
	v_mov_b32_e32 v57, v56                                     // 000000003CA8: 7E720338
	v_pk_fma_f32 v[132:133], v[164:165], v[56:57], v[132:133]  // 000000003CAC: D3B04084 1E1271A4
	v_pk_fma_f32 v[134:135], v[166:167], v[56:57], v[134:135]  // 000000003CB4: D3B04086 1E1A71A6
	v_pk_fma_f32 v[140:141], v[172:173], v[56:57], v[140:141]  // 000000003CBC: D3B0408C 1E3271AC
	v_pk_fma_f32 v[142:143], v[174:175], v[56:57], v[142:143]  // 000000003CC4: D3B0408E 1E3A71AE
	v_mul_f32_dpp v56, v23, v18 row_newbcast:3 row_mask:0xf bank_mask:0xf// 000000003CCC: 0A7024FA FF015317
	v_mov_b32_e32 v57, v56                                     // 000000003CD4: 7E720338
	v_pk_fma_f32 v[148:149], v[180:181], v[56:57], v[148:149]  // 000000003CD8: D3B04094 1E5271B4
	v_pk_fma_f32 v[150:151], v[182:183], v[56:57], v[150:151]  // 000000003CE0: D3B04096 1E5A71B6
	v_pk_fma_f32 v[156:157], v[188:189], v[56:57], v[156:157]  // 000000003CE8: D3B0409C 1E7271BC
	v_pk_fma_f32 v[158:159], v[190:191], v[56:57], v[158:159]  // 000000003CF0: D3B0409E 1E7A71BE
	s_add_u32 s60, 0x100, s80                                  // 000000003CF8: 803C50FF 00000100
	s_cmp_lt_u32 s60, s81                                      // 000000003D00: BF0A513C
	s_cselect_b32 s4, s4, 0                                    // 000000003D04: 85048004
	s_add_u32 s32, s4, s32                                     // 000000003D08: 80202004
	s_addc_u32 s33, 0, s33                                     // 000000003D0C: 82212180
	s_waitcnt vmcnt(8)                                         // 000000003D10: BF8C0F78
	s_barrier                                                  // 000000003D14: BF8A0000
	v_mfma_f32_16x16x32_fp8_fp8 v[96:99], a[64:65], v[192:193], 0// 000000003D18: D3F30060 0A038140
	v_mfma_f32_16x16x32_fp8_fp8 v[96:99], a[66:67], v[194:195], v[96:99]// 000000003D20: D3F30060 0D838542
	buffer_load_dwordx4 a[0:3], v44, s[24:27], 0 offen         // 000000003D28: E05C1000 8086002C
	v_mfma_f32_16x16x32_fp8_fp8 v[96:99], a[68:69], v[196:197], v[96:99]// 000000003D30: D3F30060 0D838944
	v_mfma_f32_16x16x32_fp8_fp8 v[96:99], a[70:71], v[198:199], v[96:99]// 000000003D38: D3F30060 0D838D46
	buffer_load_dword v23, v11, s[32:35], 0 offen              // 000000003D40: E0501000 8008170B
	v_mfma_f32_16x16x32_fp8_fp8 v[100:103], a[64:65], v[208:209], 0// 000000003D48: D3F30064 0A03A140
	v_mfma_f32_16x16x32_fp8_fp8 v[100:103], a[66:67], v[210:211], v[100:103]// 000000003D50: D3F30064 0D93A542
	buffer_load_dwordx4 a[4:7], v44, s[24:27], 0 offen offset:1024// 000000003D58: E05C1400 8086042C
	v_mfma_f32_16x16x32_fp8_fp8 v[100:103], a[68:69], v[212:213], v[100:103]// 000000003D60: D3F30064 0D93A944
	v_mfma_f32_16x16x32_fp8_fp8 v[100:103], a[70:71], v[214:215], v[100:103]// 000000003D68: D3F30064 0D93AD46
	v_mfma_f32_16x16x32_fp8_fp8 v[104:107], a[80:81], v[192:193], 0// 000000003D70: D3F30068 0A038150
	v_mfma_f32_16x16x32_fp8_fp8 v[104:107], a[82:83], v[194:195], v[104:107]// 000000003D78: D3F30068 0DA38552
	buffer_load_dwordx4 a[16:19], v45, s[24:27], 0 offen       // 000000003D80: E05C1000 8086102D
	v_mfma_f32_16x16x32_fp8_fp8 v[104:107], a[84:85], v[196:197], v[104:107]// 000000003D88: D3F30068 0DA38954
	v_mfma_f32_16x16x32_fp8_fp8 v[104:107], a[86:87], v[198:199], v[104:107]// 000000003D90: D3F30068 0DA38D56
	v_mfma_f32_16x16x32_fp8_fp8 v[108:111], a[80:81], v[208:209], 0// 000000003D98: D3F3006C 0A03A150
	v_mfma_f32_16x16x32_fp8_fp8 v[108:111], a[82:83], v[210:211], v[108:111]// 000000003DA0: D3F3006C 0DB3A552
	buffer_load_dwordx4 a[20:23], v45, s[24:27], 0 offen offset:1024// 000000003DA8: E05C1400 8086142D
	v_mfma_f32_16x16x32_fp8_fp8 v[108:111], a[84:85], v[212:213], v[108:111]// 000000003DB0: D3F3006C 0DB3A954
	v_mfma_f32_16x16x32_fp8_fp8 v[108:111], a[86:87], v[214:215], v[108:111]// 000000003DB8: D3F3006C 0DB3AD56
	v_mfma_f32_16x16x32_fp8_fp8 v[112:115], a[96:97], v[192:193], 0// 000000003DC0: D3F30070 0A038160
	v_mfma_f32_16x16x32_fp8_fp8 v[112:115], a[98:99], v[194:195], v[112:115]// 000000003DC8: D3F30070 0DC38562
	buffer_load_dwordx4 a[32:35], v46, s[24:27], 0 offen       // 000000003DD0: E05C1000 8086202E
	v_mfma_f32_16x16x32_fp8_fp8 v[112:115], a[100:101], v[196:197], v[112:115]// 000000003DD8: D3F30070 0DC38964
	v_mfma_f32_16x16x32_fp8_fp8 v[112:115], a[102:103], v[198:199], v[112:115]// 000000003DE0: D3F30070 0DC38D66
	v_mfma_f32_16x16x32_fp8_fp8 v[116:119], a[96:97], v[208:209], 0// 000000003DE8: D3F30074 0A03A160
	v_mfma_f32_16x16x32_fp8_fp8 v[116:119], a[98:99], v[210:211], v[116:119]// 000000003DF0: D3F30074 0DD3A562
	buffer_load_dwordx4 a[36:39], v46, s[24:27], 0 offen offset:1024// 000000003DF8: E05C1400 8086242E
	v_mfma_f32_16x16x32_fp8_fp8 v[116:119], a[100:101], v[212:213], v[116:119]// 000000003E00: D3F30074 0DD3A964
	v_mfma_f32_16x16x32_fp8_fp8 v[116:119], a[102:103], v[214:215], v[116:119]// 000000003E08: D3F30074 0DD3AD66
	v_mfma_f32_16x16x32_fp8_fp8 v[120:123], a[112:113], v[192:193], 0// 000000003E10: D3F30078 0A038170
	v_mfma_f32_16x16x32_fp8_fp8 v[120:123], a[114:115], v[194:195], v[120:123]// 000000003E18: D3F30078 0DE38572
	buffer_load_dwordx4 a[48:51], v47, s[24:27], 0 offen       // 000000003E20: E05C1000 8086302F
	v_mfma_f32_16x16x32_fp8_fp8 v[120:123], a[116:117], v[196:197], v[120:123]// 000000003E28: D3F30078 0DE38974
	v_mfma_f32_16x16x32_fp8_fp8 v[120:123], a[118:119], v[198:199], v[120:123]// 000000003E30: D3F30078 0DE38D76
	v_mfma_f32_16x16x32_fp8_fp8 v[124:127], a[112:113], v[208:209], 0// 000000003E38: D3F3007C 0A03A170
	v_mfma_f32_16x16x32_fp8_fp8 v[124:127], a[114:115], v[210:211], v[124:127]// 000000003E40: D3F3007C 0DF3A572
	buffer_load_dwordx4 a[52:55], v47, s[24:27], 0 offen offset:1024// 000000003E48: E05C1400 8086342F
	v_mfma_f32_16x16x32_fp8_fp8 v[124:127], a[116:117], v[212:213], v[124:127]// 000000003E50: D3F3007C 0DF3A974
	v_mfma_f32_16x16x32_fp8_fp8 v[124:127], a[118:119], v[214:215], v[124:127]// 000000003E58: D3F3007C 0DF3AD76
	v_mul_f32_dpp v56, v24, v15 row_newbcast:0 row_mask:0xf bank_mask:0xf// 000000003E60: 0A701EFA FF015018
	v_mov_b32_e32 v57, v56                                     // 000000003E68: 7E720338
	v_pk_fma_f32 v[64:65], v[96:97], v[56:57], v[64:65]        // 000000003E6C: D3B04040 1D027160
	v_pk_fma_f32 v[66:67], v[98:99], v[56:57], v[66:67]        // 000000003E74: D3B04042 1D0A7162
	v_pk_fma_f32 v[72:73], v[104:105], v[56:57], v[72:73]      // 000000003E7C: D3B04048 1D227168
	v_pk_fma_f32 v[74:75], v[106:107], v[56:57], v[74:75]      // 000000003E84: D3B0404A 1D2A716A
	v_mul_f32_dpp v56, v24, v15 row_newbcast:1 row_mask:0xf bank_mask:0xf// 000000003E8C: 0A701EFA FF015118
	v_mov_b32_e32 v57, v56                                     // 000000003E94: 7E720338
	v_pk_fma_f32 v[80:81], v[112:113], v[56:57], v[80:81]      // 000000003E98: D3B04050 1D427170
	v_pk_fma_f32 v[82:83], v[114:115], v[56:57], v[82:83]      // 000000003EA0: D3B04052 1D4A7172
	v_pk_fma_f32 v[88:89], v[120:121], v[56:57], v[88:89]      // 000000003EA8: D3B04058 1D627178
	v_pk_fma_f32 v[90:91], v[122:123], v[56:57], v[90:91]      // 000000003EB0: D3B0405A 1D6A717A
	v_mul_f32_dpp v56, v24, v16 row_newbcast:0 row_mask:0xf bank_mask:0xf// 000000003EB8: 0A7020FA FF015018
	v_mov_b32_e32 v57, v56                                     // 000000003EC0: 7E720338
	v_pk_fma_f32 v[68:69], v[100:101], v[56:57], v[68:69]      // 000000003EC4: D3B04044 1D127164
	v_pk_fma_f32 v[70:71], v[102:103], v[56:57], v[70:71]      // 000000003ECC: D3B04046 1D1A7166
	v_pk_fma_f32 v[76:77], v[108:109], v[56:57], v[76:77]      // 000000003ED4: D3B0404C 1D32716C
	v_pk_fma_f32 v[78:79], v[110:111], v[56:57], v[78:79]      // 000000003EDC: D3B0404E 1D3A716E
	v_mul_f32_dpp v56, v24, v16 row_newbcast:1 row_mask:0xf bank_mask:0xf// 000000003EE4: 0A7020FA FF015118
	v_mov_b32_e32 v57, v56                                     // 000000003EEC: 7E720338
	v_pk_fma_f32 v[84:85], v[116:117], v[56:57], v[84:85]      // 000000003EF0: D3B04054 1D527174
	v_pk_fma_f32 v[86:87], v[118:119], v[56:57], v[86:87]      // 000000003EF8: D3B04056 1D5A7176
	v_pk_fma_f32 v[92:93], v[124:125], v[56:57], v[92:93]      // 000000003F00: D3B0405C 1D72717C
	v_pk_fma_f32 v[94:95], v[126:127], v[56:57], v[94:95]      // 000000003F08: D3B0405E 1D7A717E
	s_waitcnt vmcnt(13)                                        // 000000003F10: BF8C0F7D
	v_mfma_f32_16x16x32_fp8_fp8 v[96:99], a[72:73], v[200:201], 0// 000000003F14: D3F30060 0A039148
	v_mfma_f32_16x16x32_fp8_fp8 v[96:99], a[74:75], v[202:203], v[96:99]// 000000003F1C: D3F30060 0D83954A
	buffer_load_dwordx4 a[8:11], v44, s[24:27], 0 offen offset:2048// 000000003F24: E05C1800 8086082C
	v_mfma_f32_16x16x32_fp8_fp8 v[96:99], a[76:77], v[204:205], v[96:99]// 000000003F2C: D3F30060 0D83994C
	v_mfma_f32_16x16x32_fp8_fp8 v[96:99], a[78:79], v[206:207], v[96:99]// 000000003F34: D3F30060 0D839D4E
	ds_read_b128 v[224:227], v2 offset:9344                    // 000000003F3C: D9FE2480 E0000002
	ds_read_b32 v19, v3 offset:17664                           // 000000003F44: D86C4500 13000003
	v_mfma_f32_16x16x32_fp8_fp8 v[100:103], a[72:73], v[216:217], 0// 000000003F4C: D3F30064 0A03B148
	v_mfma_f32_16x16x32_fp8_fp8 v[100:103], a[74:75], v[218:219], v[100:103]// 000000003F54: D3F30064 0D93B54A
	buffer_load_dwordx4 a[12:15], v44, s[24:27], 0 offen offset:3072// 000000003F5C: E05C1C00 80860C2C
	v_mfma_f32_16x16x32_fp8_fp8 v[100:103], a[76:77], v[220:221], v[100:103]// 000000003F64: D3F30064 0D93B94C
	v_mfma_f32_16x16x32_fp8_fp8 v[100:103], a[78:79], v[222:223], v[100:103]// 000000003F6C: D3F30064 0D93BD4E
	ds_read_b128 v[228:231], v2 offset:9408                    // 000000003F74: D9FE24C0 E4000002
	ds_read_b32 v20, v3 offset:17920                           // 000000003F7C: D86C4600 14000003
	v_mfma_f32_16x16x32_fp8_fp8 v[104:107], a[88:89], v[200:201], 0// 000000003F84: D3F30068 0A039158
	v_mfma_f32_16x16x32_fp8_fp8 v[104:107], a[90:91], v[202:203], v[104:107]// 000000003F8C: D3F30068 0DA3955A
	buffer_load_dwordx4 a[24:27], v45, s[24:27], 0 offen offset:2048// 000000003F94: E05C1800 8086182D
	v_mfma_f32_16x16x32_fp8_fp8 v[104:107], a[92:93], v[204:205], v[104:107]// 000000003F9C: D3F30068 0DA3995C
	v_mfma_f32_16x16x32_fp8_fp8 v[104:107], a[94:95], v[206:207], v[104:107]// 000000003FA4: D3F30068 0DA39D5E
	ds_read_b128 v[232:235], v2 offset:9472                    // 000000003FAC: D9FE2500 E8000002
	ds_read_b32 v21, v3 offset:18176                           // 000000003FB4: D86C4700 15000003
	v_mfma_f32_16x16x32_fp8_fp8 v[108:111], a[88:89], v[216:217], 0// 000000003FBC: D3F3006C 0A03B158
	v_mfma_f32_16x16x32_fp8_fp8 v[108:111], a[90:91], v[218:219], v[108:111]// 000000003FC4: D3F3006C 0DB3B55A
	buffer_load_dwordx4 a[28:31], v45, s[24:27], 0 offen offset:3072// 000000003FCC: E05C1C00 80861C2D
	v_mfma_f32_16x16x32_fp8_fp8 v[108:111], a[92:93], v[220:221], v[108:111]// 000000003FD4: D3F3006C 0DB3B95C
	v_mfma_f32_16x16x32_fp8_fp8 v[108:111], a[94:95], v[222:223], v[108:111]// 000000003FDC: D3F3006C 0DB3BD5E
	ds_read_b128 v[236:239], v2 offset:9536                    // 000000003FE4: D9FE2540 EC000002
	ds_read_b32 v22, v3 offset:18432                           // 000000003FEC: D86C4800 16000003
	s_waitcnt vmcnt(13)                                        // 000000003FF4: BF8C0F7D
	v_mfma_f32_16x16x32_fp8_fp8 v[112:115], a[104:105], v[200:201], 0// 000000003FF8: D3F30070 0A039168
	v_mfma_f32_16x16x32_fp8_fp8 v[112:115], a[106:107], v[202:203], v[112:115]// 000000004000: D3F30070 0DC3956A
	buffer_load_dwordx4 a[40:43], v46, s[24:27], 0 offen offset:2048// 000000004008: E05C1800 8086282E
	v_mfma_f32_16x16x32_fp8_fp8 v[112:115], a[108:109], v[204:205], v[112:115]// 000000004010: D3F30070 0DC3996C
	v_mfma_f32_16x16x32_fp8_fp8 v[112:115], a[110:111], v[206:207], v[112:115]// 000000004018: D3F30070 0DC39D6E
	ds_read_b128 v[240:243], v2 offset:10368                   // 000000004020: D9FE2880 F0000002
	v_mfma_f32_16x16x32_fp8_fp8 v[116:119], a[104:105], v[216:217], 0// 000000004028: D3F30074 0A03B168
	v_mfma_f32_16x16x32_fp8_fp8 v[116:119], a[106:107], v[218:219], v[116:119]// 000000004030: D3F30074 0DD3B56A
	buffer_load_dwordx4 a[44:47], v46, s[24:27], 0 offen offset:3072// 000000004038: E05C1C00 80862C2E
	v_mfma_f32_16x16x32_fp8_fp8 v[116:119], a[108:109], v[220:221], v[116:119]// 000000004040: D3F30074 0DD3B96C
	v_mfma_f32_16x16x32_fp8_fp8 v[116:119], a[110:111], v[222:223], v[116:119]// 000000004048: D3F30074 0DD3BD6E
	ds_read_b128 v[244:247], v2 offset:10432                   // 000000004050: D9FE28C0 F4000002
	v_mfma_f32_16x16x32_fp8_fp8 v[120:123], a[120:121], v[200:201], 0// 000000004058: D3F30078 0A039178
	v_mfma_f32_16x16x32_fp8_fp8 v[120:123], a[122:123], v[202:203], v[120:123]// 000000004060: D3F30078 0DE3957A
	buffer_load_dwordx4 a[56:59], v47, s[24:27], 0 offen offset:2048// 000000004068: E05C1800 8086382F
	v_mfma_f32_16x16x32_fp8_fp8 v[120:123], a[124:125], v[204:205], v[120:123]// 000000004070: D3F30078 0DE3997C
	v_mfma_f32_16x16x32_fp8_fp8 v[120:123], a[126:127], v[206:207], v[120:123]// 000000004078: D3F30078 0DE39D7E
	ds_read_b128 v[248:251], v2 offset:10496                   // 000000004080: D9FE2900 F8000002
	v_mfma_f32_16x16x32_fp8_fp8 v[124:127], a[120:121], v[216:217], 0// 000000004088: D3F3007C 0A03B178
	v_mfma_f32_16x16x32_fp8_fp8 v[124:127], a[122:123], v[218:219], v[124:127]// 000000004090: D3F3007C 0DF3B57A
	buffer_load_dwordx4 a[60:63], v47, s[24:27], 0 offen offset:3072// 000000004098: E05C1C00 80863C2F
	v_mfma_f32_16x16x32_fp8_fp8 v[124:127], a[124:125], v[220:221], v[124:127]// 0000000040A0: D3F3007C 0DF3B97C
	v_mfma_f32_16x16x32_fp8_fp8 v[124:127], a[126:127], v[222:223], v[124:127]// 0000000040A8: D3F3007C 0DF3BD7E
	ds_read_b128 v[252:255], v2 offset:10560                   // 0000000040B0: D9FE2940 FC000002
	v_mul_f32_dpp v56, v24, v17 row_newbcast:2 row_mask:0xf bank_mask:0xf// 0000000040B8: 0A7022FA FF015218
	v_mov_b32_e32 v57, v56                                     // 0000000040C0: 7E720338
	v_pk_fma_f32 v[64:65], v[96:97], v[56:57], v[64:65]        // 0000000040C4: D3B04040 1D027160
	v_pk_fma_f32 v[66:67], v[98:99], v[56:57], v[66:67]        // 0000000040CC: D3B04042 1D0A7162
	v_pk_fma_f32 v[72:73], v[104:105], v[56:57], v[72:73]      // 0000000040D4: D3B04048 1D227168
	v_pk_fma_f32 v[74:75], v[106:107], v[56:57], v[74:75]      // 0000000040DC: D3B0404A 1D2A716A
	v_mul_f32_dpp v56, v24, v17 row_newbcast:3 row_mask:0xf bank_mask:0xf// 0000000040E4: 0A7022FA FF015318
	v_mov_b32_e32 v57, v56                                     // 0000000040EC: 7E720338
	v_pk_fma_f32 v[80:81], v[112:113], v[56:57], v[80:81]      // 0000000040F0: D3B04050 1D427170
	v_pk_fma_f32 v[82:83], v[114:115], v[56:57], v[82:83]      // 0000000040F8: D3B04052 1D4A7172
	v_pk_fma_f32 v[88:89], v[120:121], v[56:57], v[88:89]      // 000000004100: D3B04058 1D627178
	v_pk_fma_f32 v[90:91], v[122:123], v[56:57], v[90:91]      // 000000004108: D3B0405A 1D6A717A
	v_mul_f32_dpp v56, v24, v18 row_newbcast:2 row_mask:0xf bank_mask:0xf// 000000004110: 0A7024FA FF015218
	v_mov_b32_e32 v57, v56                                     // 000000004118: 7E720338
	v_pk_fma_f32 v[68:69], v[100:101], v[56:57], v[68:69]      // 00000000411C: D3B04044 1D127164
	v_pk_fma_f32 v[70:71], v[102:103], v[56:57], v[70:71]      // 000000004124: D3B04046 1D1A7166
	v_pk_fma_f32 v[76:77], v[108:109], v[56:57], v[76:77]      // 00000000412C: D3B0404C 1D32716C
	v_pk_fma_f32 v[78:79], v[110:111], v[56:57], v[78:79]      // 000000004134: D3B0404E 1D3A716E
	v_mul_f32_dpp v56, v24, v18 row_newbcast:3 row_mask:0xf bank_mask:0xf// 00000000413C: 0A7024FA FF015318
	v_mov_b32_e32 v57, v56                                     // 000000004144: 7E720338
	v_pk_fma_f32 v[84:85], v[116:117], v[56:57], v[84:85]      // 000000004148: D3B04054 1D527174
	v_pk_fma_f32 v[86:87], v[118:119], v[56:57], v[86:87]      // 000000004150: D3B04056 1D5A7176
	v_pk_fma_f32 v[92:93], v[124:125], v[56:57], v[92:93]      // 000000004158: D3B0405C 1D72717C
	v_pk_fma_f32 v[94:95], v[126:127], v[56:57], v[94:95]      // 000000004160: D3B0405E 1D7A717E
	s_add_u32 s60, 0x200, s80                                  // 000000004168: 803C50FF 00000200
	s_cmp_lt_u32 s60, s81                                      // 000000004170: BF0A513C
	s_cselect_b32 s57, s57, 0                                  // 000000004174: 85398039
	s_cselect_b32 s3, s3, 0                                    // 000000004178: 85038003
	s_add_u32 s60, 0x200, s80                                  // 00000000417C: 803C50FF 00000200
	s_cmp_lt_u32 s60, s81                                      // 000000004184: BF0A513C
	s_cselect_b32 s58, s58, 0                                  // 000000004188: 853A803A
	s_add_u32 s20, s57, s20                                    // 00000000418C: 80141439
	s_addc_u32 s21, 0, s21                                     // 000000004190: 82151580
	s_add_u32 s28, s3, s28                                     // 000000004194: 801C1C03
	s_addc_u32 s29, 0, s29                                     // 000000004198: 821D1D80
	s_add_u32 s24, s58, s24                                    // 00000000419C: 8018183A
	s_addc_u32 s25, 0, s25                                     // 0000000041A0: 82191980
	s_add_u32 s92, s90, s92                                    // 0000000041A4: 805C5C5A
	s_addc_u32 s93, 0, s93                                     // 0000000041A8: 825D5D80
	s_addk_i32 s80, 0x100                                      // 0000000041AC: B7500100
	s_cmp_lt_i32 s80, s81                                      // 0000000041B0: BF045150
	s_cbranch_scc0 label_073F                                  // 0000000041B4: BF840251
	s_waitcnt vmcnt(8) lgkmcnt(0)                              // 0000000041B8: BF8C0078
	s_barrier                                                  // 0000000041BC: BF8A0000
	v_mfma_f32_16x16x32_fp8_fp8 v[160:163], a[0:1], v[224:225], 0// 0000000041C0: D3F300A0 0A03C100
	v_mfma_f32_16x16x32_fp8_fp8 v[160:163], a[2:3], v[226:227], v[160:163]// 0000000041C8: D3F300A0 0E83C502
	buffer_load_dwordx4 a[64:67], v44, s[92:95], 0 offen       // 0000000041D0: E05C1000 8097402C
	v_mfma_f32_16x16x32_fp8_fp8 v[160:163], a[4:5], v[228:229], v[160:163]// 0000000041D8: D3F300A0 0E83C904
	v_mfma_f32_16x16x32_fp8_fp8 v[160:163], a[6:7], v[230:231], v[160:163]// 0000000041E0: D3F300A0 0E83CD06
	buffer_load_dword v36, s[20:23], 0 offen lds               // 0000000041E8: E0511000 80050024
	s_add_u32 m0, 0x100, s50                                   // 0000000041F0: 807C32FF 00000100
	v_mfma_f32_16x16x32_fp8_fp8 v[164:167], a[0:1], v[240:241], 0// 0000000041F8: D3F300A4 0A03E100
	v_mfma_f32_16x16x32_fp8_fp8 v[164:167], a[2:3], v[242:243], v[164:167]// 000000004200: D3F300A4 0E93E502
	buffer_load_dwordx4 a[68:71], v44, s[92:95], 0 offen offset:1024// 000000004208: E05C1400 8097442C
	v_mfma_f32_16x16x32_fp8_fp8 v[164:167], a[4:5], v[244:245], v[164:167]// 000000004210: D3F300A4 0E93E904
	v_mfma_f32_16x16x32_fp8_fp8 v[164:167], a[6:7], v[246:247], v[164:167]// 000000004218: D3F300A4 0E93ED06
	buffer_load_dword v37, s[20:23], 0 offen lds               // 000000004220: E0511000 80050025
	s_add_u32 m0, 0x200, s50                                   // 000000004228: 807C32FF 00000200
	v_mfma_f32_16x16x32_fp8_fp8 v[168:171], a[16:17], v[224:225], 0// 000000004230: D3F300A8 0A03C110
	v_mfma_f32_16x16x32_fp8_fp8 v[168:171], a[18:19], v[226:227], v[168:171]// 000000004238: D3F300A8 0EA3C512
	buffer_load_dwordx4 a[80:83], v45, s[92:95], 0 offen       // 000000004240: E05C1000 8097502D
	v_mfma_f32_16x16x32_fp8_fp8 v[168:171], a[20:21], v[228:229], v[168:171]// 000000004248: D3F300A8 0EA3C914
	v_mfma_f32_16x16x32_fp8_fp8 v[168:171], a[22:23], v[230:231], v[168:171]// 000000004250: D3F300A8 0EA3CD16
	buffer_load_dword v38, s[20:23], 0 offen lds               // 000000004258: E0511000 80050026
	s_add_u32 m0, 0x300, s50                                   // 000000004260: 807C32FF 00000300
	v_mfma_f32_16x16x32_fp8_fp8 v[172:175], a[16:17], v[240:241], 0// 000000004268: D3F300AC 0A03E110
	v_mfma_f32_16x16x32_fp8_fp8 v[172:175], a[18:19], v[242:243], v[172:175]// 000000004270: D3F300AC 0EB3E512
	buffer_load_dwordx4 a[84:87], v45, s[92:95], 0 offen offset:1024// 000000004278: E05C1400 8097542D
	v_mfma_f32_16x16x32_fp8_fp8 v[172:175], a[20:21], v[244:245], v[172:175]// 000000004280: D3F300AC 0EB3E914
	v_mfma_f32_16x16x32_fp8_fp8 v[172:175], a[22:23], v[246:247], v[172:175]// 000000004288: D3F300AC 0EB3ED16
	buffer_load_dword v39, s[20:23], 0 offen lds               // 000000004290: E0511000 80050027
	s_add_u32 m0, 0x400, s50                                   // 000000004298: 807C32FF 00000400
	v_mfma_f32_16x16x32_fp8_fp8 v[176:179], a[32:33], v[224:225], 0// 0000000042A0: D3F300B0 0A03C120
	v_mfma_f32_16x16x32_fp8_fp8 v[176:179], a[34:35], v[226:227], v[176:179]// 0000000042A8: D3F300B0 0EC3C522
	buffer_load_dwordx4 a[96:99], v46, s[92:95], 0 offen       // 0000000042B0: E05C1000 8097602E
	v_mfma_f32_16x16x32_fp8_fp8 v[176:179], a[36:37], v[228:229], v[176:179]// 0000000042B8: D3F300B0 0EC3C924
	v_mfma_f32_16x16x32_fp8_fp8 v[176:179], a[38:39], v[230:231], v[176:179]// 0000000042C0: D3F300B0 0EC3CD26
	buffer_load_dword v40, s[20:23], 0 offen lds               // 0000000042C8: E0511000 80050028
	s_add_u32 m0, 0x500, s50                                   // 0000000042D0: 807C32FF 00000500
	v_mfma_f32_16x16x32_fp8_fp8 v[180:183], a[32:33], v[240:241], 0// 0000000042D8: D3F300B4 0A03E120
	v_mfma_f32_16x16x32_fp8_fp8 v[180:183], a[34:35], v[242:243], v[180:183]// 0000000042E0: D3F300B4 0ED3E522
	buffer_load_dwordx4 a[100:103], v46, s[92:95], 0 offen offset:1024// 0000000042E8: E05C1400 8097642E
	v_mfma_f32_16x16x32_fp8_fp8 v[180:183], a[36:37], v[244:245], v[180:183]// 0000000042F0: D3F300B4 0ED3E924
	v_mfma_f32_16x16x32_fp8_fp8 v[180:183], a[38:39], v[246:247], v[180:183]// 0000000042F8: D3F300B4 0ED3ED26
	buffer_load_dword v41, s[20:23], 0 offen lds               // 000000004300: E0511000 80050029
	s_add_u32 m0, 0x600, s50                                   // 000000004308: 807C32FF 00000600
	v_mfma_f32_16x16x32_fp8_fp8 v[184:187], a[48:49], v[224:225], 0// 000000004310: D3F300B8 0A03C130
	v_mfma_f32_16x16x32_fp8_fp8 v[184:187], a[50:51], v[226:227], v[184:187]// 000000004318: D3F300B8 0EE3C532
	buffer_load_dwordx4 a[112:115], v47, s[92:95], 0 offen     // 000000004320: E05C1000 8097702F
	v_mfma_f32_16x16x32_fp8_fp8 v[184:187], a[52:53], v[228:229], v[184:187]// 000000004328: D3F300B8 0EE3C934
	v_mfma_f32_16x16x32_fp8_fp8 v[184:187], a[54:55], v[230:231], v[184:187]// 000000004330: D3F300B8 0EE3CD36
	buffer_load_dword v42, s[20:23], 0 offen lds               // 000000004338: E0511000 8005002A
	s_add_u32 m0, 0x700, s50                                   // 000000004340: 807C32FF 00000700
	v_mfma_f32_16x16x32_fp8_fp8 v[188:191], a[48:49], v[240:241], 0// 000000004348: D3F300BC 0A03E130
	v_mfma_f32_16x16x32_fp8_fp8 v[188:191], a[50:51], v[242:243], v[188:191]// 000000004350: D3F300BC 0EF3E532
	buffer_load_dwordx4 a[116:119], v47, s[92:95], 0 offen offset:1024// 000000004358: E05C1400 8097742F
	v_mfma_f32_16x16x32_fp8_fp8 v[188:191], a[52:53], v[244:245], v[188:191]// 000000004360: D3F300BC 0EF3E934
	v_mfma_f32_16x16x32_fp8_fp8 v[188:191], a[54:55], v[246:247], v[188:191]// 000000004368: D3F300BC 0EF3ED36
	buffer_load_dword v43, s[20:23], 0 offen lds               // 000000004370: E0511000 8005002B
	s_add_u32 m0, s50, s76                                     // 000000004378: 807C4C32
	buffer_load_dword v7, s[28:31], 0 offen lds                // 00000000437C: E0511000 80070007
	s_add_u32 m0, 0, s51                                       // 000000004384: 807C3380
	buffer_load_dword v24, v13, s[32:35], 0 offen              // 000000004388: E0501000 8008180D
	v_mul_f32_dpp v56, v23, v19 row_newbcast:0 row_mask:0xf bank_mask:0xf// 000000004390: 0A7026FA FF015017
	v_mov_b32_e32 v57, v56                                     // 000000004398: 7E720338
	v_pk_fma_f32 v[128:129], v[160:161], v[56:57], v[128:129]  // 00000000439C: D3B04080 1E0271A0
	v_pk_fma_f32 v[130:131], v[162:163], v[56:57], v[130:131]  // 0000000043A4: D3B04082 1E0A71A2
	v_pk_fma_f32 v[136:137], v[168:169], v[56:57], v[136:137]  // 0000000043AC: D3B04088 1E2271A8
	v_pk_fma_f32 v[138:139], v[170:171], v[56:57], v[138:139]  // 0000000043B4: D3B0408A 1E2A71AA
	v_mul_f32_dpp v56, v23, v19 row_newbcast:1 row_mask:0xf bank_mask:0xf// 0000000043BC: 0A7026FA FF015117
	v_mov_b32_e32 v57, v56                                     // 0000000043C4: 7E720338
	v_pk_fma_f32 v[144:145], v[176:177], v[56:57], v[144:145]  // 0000000043C8: D3B04090 1E4271B0
	v_pk_fma_f32 v[146:147], v[178:179], v[56:57], v[146:147]  // 0000000043D0: D3B04092 1E4A71B2
	v_pk_fma_f32 v[152:153], v[184:185], v[56:57], v[152:153]  // 0000000043D8: D3B04098 1E6271B8
	v_pk_fma_f32 v[154:155], v[186:187], v[56:57], v[154:155]  // 0000000043E0: D3B0409A 1E6A71BA
	v_mul_f32_dpp v56, v23, v20 row_newbcast:0 row_mask:0xf bank_mask:0xf// 0000000043E8: 0A7028FA FF015017
	v_mov_b32_e32 v57, v56                                     // 0000000043F0: 7E720338
	v_pk_fma_f32 v[132:133], v[164:165], v[56:57], v[132:133]  // 0000000043F4: D3B04084 1E1271A4
	v_pk_fma_f32 v[134:135], v[166:167], v[56:57], v[134:135]  // 0000000043FC: D3B04086 1E1A71A6
	v_pk_fma_f32 v[140:141], v[172:173], v[56:57], v[140:141]  // 000000004404: D3B0408C 1E3271AC
	v_pk_fma_f32 v[142:143], v[174:175], v[56:57], v[142:143]  // 00000000440C: D3B0408E 1E3A71AE
	v_mul_f32_dpp v56, v23, v20 row_newbcast:1 row_mask:0xf bank_mask:0xf// 000000004414: 0A7028FA FF015117
	v_mov_b32_e32 v57, v56                                     // 00000000441C: 7E720338
	v_pk_fma_f32 v[148:149], v[180:181], v[56:57], v[148:149]  // 000000004420: D3B04094 1E5271B4
	v_pk_fma_f32 v[150:151], v[182:183], v[56:57], v[150:151]  // 000000004428: D3B04096 1E5A71B6
	v_pk_fma_f32 v[156:157], v[188:189], v[56:57], v[156:157]  // 000000004430: D3B0409C 1E7271BC
	v_pk_fma_f32 v[158:159], v[190:191], v[56:57], v[158:159]  // 000000004438: D3B0409E 1E7A71BE
	s_waitcnt vmcnt(22)                                        // 000000004440: BF8C4F76
	v_mfma_f32_16x16x32_fp8_fp8 v[160:163], a[8:9], v[232:233], 0// 000000004444: D3F300A0 0A03D108
	v_mfma_f32_16x16x32_fp8_fp8 v[160:163], a[10:11], v[234:235], v[160:163]// 00000000444C: D3F300A0 0E83D50A
	buffer_load_dwordx4 a[72:75], v44, s[92:95], 0 offen offset:2048// 000000004454: E05C1800 8097482C
	v_mfma_f32_16x16x32_fp8_fp8 v[160:163], a[12:13], v[236:237], v[160:163]// 00000000445C: D3F300A0 0E83D90C
	v_mfma_f32_16x16x32_fp8_fp8 v[160:163], a[14:15], v[238:239], v[160:163]// 000000004464: D3F300A0 0E83DD0E
	v_mfma_f32_16x16x32_fp8_fp8 v[164:167], a[8:9], v[248:249], 0// 00000000446C: D3F300A4 0A03F108
	v_mfma_f32_16x16x32_fp8_fp8 v[164:167], a[10:11], v[250:251], v[164:167]// 000000004474: D3F300A4 0E93F50A
	buffer_load_dwordx4 a[76:79], v44, s[92:95], 0 offen offset:3072// 00000000447C: E05C1C00 80974C2C
	v_mfma_f32_16x16x32_fp8_fp8 v[164:167], a[12:13], v[252:253], v[164:167]// 000000004484: D3F300A4 0E93F90C
	v_mfma_f32_16x16x32_fp8_fp8 v[164:167], a[14:15], v[254:255], v[164:167]// 00000000448C: D3F300A4 0E93FD0E
	v_mfma_f32_16x16x32_fp8_fp8 v[168:171], a[24:25], v[232:233], 0// 000000004494: D3F300A8 0A03D118
	v_mfma_f32_16x16x32_fp8_fp8 v[168:171], a[26:27], v[234:235], v[168:171]// 00000000449C: D3F300A8 0EA3D51A
	buffer_load_dwordx4 a[88:91], v45, s[92:95], 0 offen offset:2048// 0000000044A4: E05C1800 8097582D
	v_mfma_f32_16x16x32_fp8_fp8 v[168:171], a[28:29], v[236:237], v[168:171]// 0000000044AC: D3F300A8 0EA3D91C
	v_mfma_f32_16x16x32_fp8_fp8 v[168:171], a[30:31], v[238:239], v[168:171]// 0000000044B4: D3F300A8 0EA3DD1E
	v_mfma_f32_16x16x32_fp8_fp8 v[172:175], a[24:25], v[248:249], 0// 0000000044BC: D3F300AC 0A03F118
	v_mfma_f32_16x16x32_fp8_fp8 v[172:175], a[26:27], v[250:251], v[172:175]// 0000000044C4: D3F300AC 0EB3F51A
	buffer_load_dwordx4 a[92:95], v45, s[92:95], 0 offen offset:3072// 0000000044CC: E05C1C00 80975C2D
	v_mfma_f32_16x16x32_fp8_fp8 v[172:175], a[28:29], v[252:253], v[172:175]// 0000000044D4: D3F300AC 0EB3F91C
	v_mfma_f32_16x16x32_fp8_fp8 v[172:175], a[30:31], v[254:255], v[172:175]// 0000000044DC: D3F300AC 0EB3FD1E
	s_waitcnt vmcnt(22)                                        // 0000000044E4: BF8C4F76
	v_mfma_f32_16x16x32_fp8_fp8 v[176:179], a[40:41], v[232:233], 0// 0000000044E8: D3F300B0 0A03D128
	v_mfma_f32_16x16x32_fp8_fp8 v[176:179], a[42:43], v[234:235], v[176:179]// 0000000044F0: D3F300B0 0EC3D52A
	buffer_load_dwordx4 a[104:107], v46, s[92:95], 0 offen offset:2048// 0000000044F8: E05C1800 8097682E
	v_mfma_f32_16x16x32_fp8_fp8 v[176:179], a[44:45], v[236:237], v[176:179]// 000000004500: D3F300B0 0EC3D92C
	v_mfma_f32_16x16x32_fp8_fp8 v[176:179], a[46:47], v[238:239], v[176:179]// 000000004508: D3F300B0 0EC3DD2E
	v_mfma_f32_16x16x32_fp8_fp8 v[180:183], a[40:41], v[248:249], 0// 000000004510: D3F300B4 0A03F128
	v_mfma_f32_16x16x32_fp8_fp8 v[180:183], a[42:43], v[250:251], v[180:183]// 000000004518: D3F300B4 0ED3F52A
	buffer_load_dwordx4 a[108:111], v46, s[92:95], 0 offen offset:3072// 000000004520: E05C1C00 80976C2E
	v_mfma_f32_16x16x32_fp8_fp8 v[180:183], a[44:45], v[252:253], v[180:183]// 000000004528: D3F300B4 0ED3F92C
	v_mfma_f32_16x16x32_fp8_fp8 v[180:183], a[46:47], v[254:255], v[180:183]// 000000004530: D3F300B4 0ED3FD2E
	v_mfma_f32_16x16x32_fp8_fp8 v[184:187], a[56:57], v[232:233], 0// 000000004538: D3F300B8 0A03D138
	v_mfma_f32_16x16x32_fp8_fp8 v[184:187], a[58:59], v[234:235], v[184:187]// 000000004540: D3F300B8 0EE3D53A
	buffer_load_dwordx4 a[120:123], v47, s[92:95], 0 offen offset:2048// 000000004548: E05C1800 8097782F
	v_mfma_f32_16x16x32_fp8_fp8 v[184:187], a[60:61], v[236:237], v[184:187]// 000000004550: D3F300B8 0EE3D93C
	v_mfma_f32_16x16x32_fp8_fp8 v[184:187], a[62:63], v[238:239], v[184:187]// 000000004558: D3F300B8 0EE3DD3E
	v_mfma_f32_16x16x32_fp8_fp8 v[188:191], a[56:57], v[248:249], 0// 000000004560: D3F300BC 0A03F138
	v_mfma_f32_16x16x32_fp8_fp8 v[188:191], a[58:59], v[250:251], v[188:191]// 000000004568: D3F300BC 0EF3F53A
	buffer_load_dwordx4 a[124:127], v47, s[92:95], 0 offen offset:3072// 000000004570: E05C1C00 80977C2F
	v_mfma_f32_16x16x32_fp8_fp8 v[188:191], a[60:61], v[252:253], v[188:191]// 000000004578: D3F300BC 0EF3F93C
	v_mfma_f32_16x16x32_fp8_fp8 v[188:191], a[62:63], v[254:255], v[188:191]// 000000004580: D3F300BC 0EF3FD3E
	v_mul_f32_dpp v56, v23, v21 row_newbcast:2 row_mask:0xf bank_mask:0xf// 000000004588: 0A702AFA FF015217
	v_mov_b32_e32 v57, v56                                     // 000000004590: 7E720338
	v_pk_fma_f32 v[128:129], v[160:161], v[56:57], v[128:129]  // 000000004594: D3B04080 1E0271A0
	v_pk_fma_f32 v[130:131], v[162:163], v[56:57], v[130:131]  // 00000000459C: D3B04082 1E0A71A2
	v_pk_fma_f32 v[136:137], v[168:169], v[56:57], v[136:137]  // 0000000045A4: D3B04088 1E2271A8
	v_pk_fma_f32 v[138:139], v[170:171], v[56:57], v[138:139]  // 0000000045AC: D3B0408A 1E2A71AA
	v_mul_f32_dpp v56, v23, v21 row_newbcast:3 row_mask:0xf bank_mask:0xf// 0000000045B4: 0A702AFA FF015317
	v_mov_b32_e32 v57, v56                                     // 0000000045BC: 7E720338
	v_pk_fma_f32 v[144:145], v[176:177], v[56:57], v[144:145]  // 0000000045C0: D3B04090 1E4271B0
	v_pk_fma_f32 v[146:147], v[178:179], v[56:57], v[146:147]  // 0000000045C8: D3B04092 1E4A71B2
	v_pk_fma_f32 v[152:153], v[184:185], v[56:57], v[152:153]  // 0000000045D0: D3B04098 1E6271B8
	v_pk_fma_f32 v[154:155], v[186:187], v[56:57], v[154:155]  // 0000000045D8: D3B0409A 1E6A71BA
	v_mul_f32_dpp v56, v23, v22 row_newbcast:2 row_mask:0xf bank_mask:0xf// 0000000045E0: 0A702CFA FF015217
	v_mov_b32_e32 v57, v56                                     // 0000000045E8: 7E720338
	v_pk_fma_f32 v[132:133], v[164:165], v[56:57], v[132:133]  // 0000000045EC: D3B04084 1E1271A4
	v_pk_fma_f32 v[134:135], v[166:167], v[56:57], v[134:135]  // 0000000045F4: D3B04086 1E1A71A6
	v_pk_fma_f32 v[140:141], v[172:173], v[56:57], v[140:141]  // 0000000045FC: D3B0408C 1E3271AC
	v_pk_fma_f32 v[142:143], v[174:175], v[56:57], v[142:143]  // 000000004604: D3B0408E 1E3A71AE
	v_mul_f32_dpp v56, v23, v22 row_newbcast:3 row_mask:0xf bank_mask:0xf// 00000000460C: 0A702CFA FF015317
	v_mov_b32_e32 v57, v56                                     // 000000004614: 7E720338
	v_pk_fma_f32 v[148:149], v[180:181], v[56:57], v[148:149]  // 000000004618: D3B04094 1E5271B4
	v_pk_fma_f32 v[150:151], v[182:183], v[56:57], v[150:151]  // 000000004620: D3B04096 1E5A71B6
	v_pk_fma_f32 v[156:157], v[188:189], v[56:57], v[156:157]  // 000000004628: D3B0409C 1E7271BC
	v_pk_fma_f32 v[158:159], v[190:191], v[56:57], v[158:159]  // 000000004630: D3B0409E 1E7A71BE
	s_add_u32 s60, 0x100, s80                                  // 000000004638: 803C50FF 00000100
	s_cmp_lt_u32 s60, s81                                      // 000000004640: BF0A513C
	s_cselect_b32 s4, s4, 0                                    // 000000004644: 85048004
	s_add_u32 s32, s4, s32                                     // 000000004648: 80202004
	s_addc_u32 s33, 0, s33                                     // 00000000464C: 82212180
	s_waitcnt vmcnt(8)                                         // 000000004650: BF8C0F78
	s_barrier                                                  // 000000004654: BF8A0000
	v_mfma_f32_16x16x32_fp8_fp8 v[96:99], a[64:65], v[224:225], 0// 000000004658: D3F30060 0A03C140
	v_mfma_f32_16x16x32_fp8_fp8 v[96:99], a[66:67], v[226:227], v[96:99]// 000000004660: D3F30060 0D83C542
	buffer_load_dwordx4 a[0:3], v44, s[24:27], 0 offen         // 000000004668: E05C1000 8086002C
	v_mfma_f32_16x16x32_fp8_fp8 v[96:99], a[68:69], v[228:229], v[96:99]// 000000004670: D3F30060 0D83C944
	v_mfma_f32_16x16x32_fp8_fp8 v[96:99], a[70:71], v[230:231], v[96:99]// 000000004678: D3F30060 0D83CD46
	buffer_load_dword v23, v11, s[32:35], 0 offen              // 000000004680: E0501000 8008170B
	v_mfma_f32_16x16x32_fp8_fp8 v[100:103], a[64:65], v[240:241], 0// 000000004688: D3F30064 0A03E140
	v_mfma_f32_16x16x32_fp8_fp8 v[100:103], a[66:67], v[242:243], v[100:103]// 000000004690: D3F30064 0D93E542
	buffer_load_dwordx4 a[4:7], v44, s[24:27], 0 offen offset:1024// 000000004698: E05C1400 8086042C
	v_mfma_f32_16x16x32_fp8_fp8 v[100:103], a[68:69], v[244:245], v[100:103]// 0000000046A0: D3F30064 0D93E944
	v_mfma_f32_16x16x32_fp8_fp8 v[100:103], a[70:71], v[246:247], v[100:103]// 0000000046A8: D3F30064 0D93ED46
	v_mfma_f32_16x16x32_fp8_fp8 v[104:107], a[80:81], v[224:225], 0// 0000000046B0: D3F30068 0A03C150
	v_mfma_f32_16x16x32_fp8_fp8 v[104:107], a[82:83], v[226:227], v[104:107]// 0000000046B8: D3F30068 0DA3C552
	buffer_load_dwordx4 a[16:19], v45, s[24:27], 0 offen       // 0000000046C0: E05C1000 8086102D
	v_mfma_f32_16x16x32_fp8_fp8 v[104:107], a[84:85], v[228:229], v[104:107]// 0000000046C8: D3F30068 0DA3C954
	v_mfma_f32_16x16x32_fp8_fp8 v[104:107], a[86:87], v[230:231], v[104:107]// 0000000046D0: D3F30068 0DA3CD56
	v_mfma_f32_16x16x32_fp8_fp8 v[108:111], a[80:81], v[240:241], 0// 0000000046D8: D3F3006C 0A03E150
	v_mfma_f32_16x16x32_fp8_fp8 v[108:111], a[82:83], v[242:243], v[108:111]// 0000000046E0: D3F3006C 0DB3E552
	buffer_load_dwordx4 a[20:23], v45, s[24:27], 0 offen offset:1024// 0000000046E8: E05C1400 8086142D
	v_mfma_f32_16x16x32_fp8_fp8 v[108:111], a[84:85], v[244:245], v[108:111]// 0000000046F0: D3F3006C 0DB3E954
	v_mfma_f32_16x16x32_fp8_fp8 v[108:111], a[86:87], v[246:247], v[108:111]// 0000000046F8: D3F3006C 0DB3ED56
	v_mfma_f32_16x16x32_fp8_fp8 v[112:115], a[96:97], v[224:225], 0// 000000004700: D3F30070 0A03C160
	v_mfma_f32_16x16x32_fp8_fp8 v[112:115], a[98:99], v[226:227], v[112:115]// 000000004708: D3F30070 0DC3C562
	buffer_load_dwordx4 a[32:35], v46, s[24:27], 0 offen       // 000000004710: E05C1000 8086202E
	v_mfma_f32_16x16x32_fp8_fp8 v[112:115], a[100:101], v[228:229], v[112:115]// 000000004718: D3F30070 0DC3C964
	v_mfma_f32_16x16x32_fp8_fp8 v[112:115], a[102:103], v[230:231], v[112:115]// 000000004720: D3F30070 0DC3CD66
	v_mfma_f32_16x16x32_fp8_fp8 v[116:119], a[96:97], v[240:241], 0// 000000004728: D3F30074 0A03E160
	v_mfma_f32_16x16x32_fp8_fp8 v[116:119], a[98:99], v[242:243], v[116:119]// 000000004730: D3F30074 0DD3E562
	buffer_load_dwordx4 a[36:39], v46, s[24:27], 0 offen offset:1024// 000000004738: E05C1400 8086242E
	v_mfma_f32_16x16x32_fp8_fp8 v[116:119], a[100:101], v[244:245], v[116:119]// 000000004740: D3F30074 0DD3E964
	v_mfma_f32_16x16x32_fp8_fp8 v[116:119], a[102:103], v[246:247], v[116:119]// 000000004748: D3F30074 0DD3ED66
	v_mfma_f32_16x16x32_fp8_fp8 v[120:123], a[112:113], v[224:225], 0// 000000004750: D3F30078 0A03C170
	v_mfma_f32_16x16x32_fp8_fp8 v[120:123], a[114:115], v[226:227], v[120:123]// 000000004758: D3F30078 0DE3C572
	buffer_load_dwordx4 a[48:51], v47, s[24:27], 0 offen       // 000000004760: E05C1000 8086302F
	v_mfma_f32_16x16x32_fp8_fp8 v[120:123], a[116:117], v[228:229], v[120:123]// 000000004768: D3F30078 0DE3C974
	v_mfma_f32_16x16x32_fp8_fp8 v[120:123], a[118:119], v[230:231], v[120:123]// 000000004770: D3F30078 0DE3CD76
	v_mfma_f32_16x16x32_fp8_fp8 v[124:127], a[112:113], v[240:241], 0// 000000004778: D3F3007C 0A03E170
	v_mfma_f32_16x16x32_fp8_fp8 v[124:127], a[114:115], v[242:243], v[124:127]// 000000004780: D3F3007C 0DF3E572
	buffer_load_dwordx4 a[52:55], v47, s[24:27], 0 offen offset:1024// 000000004788: E05C1400 8086342F
	v_mfma_f32_16x16x32_fp8_fp8 v[124:127], a[116:117], v[244:245], v[124:127]// 000000004790: D3F3007C 0DF3E974
	v_mfma_f32_16x16x32_fp8_fp8 v[124:127], a[118:119], v[246:247], v[124:127]// 000000004798: D3F3007C 0DF3ED76
	v_mul_f32_dpp v56, v24, v19 row_newbcast:0 row_mask:0xf bank_mask:0xf// 0000000047A0: 0A7026FA FF015018
	v_mov_b32_e32 v57, v56                                     // 0000000047A8: 7E720338
	v_pk_fma_f32 v[64:65], v[96:97], v[56:57], v[64:65]        // 0000000047AC: D3B04040 1D027160
	v_pk_fma_f32 v[66:67], v[98:99], v[56:57], v[66:67]        // 0000000047B4: D3B04042 1D0A7162
	v_pk_fma_f32 v[72:73], v[104:105], v[56:57], v[72:73]      // 0000000047BC: D3B04048 1D227168
	v_pk_fma_f32 v[74:75], v[106:107], v[56:57], v[74:75]      // 0000000047C4: D3B0404A 1D2A716A
	v_mul_f32_dpp v56, v24, v19 row_newbcast:1 row_mask:0xf bank_mask:0xf// 0000000047CC: 0A7026FA FF015118
	v_mov_b32_e32 v57, v56                                     // 0000000047D4: 7E720338
	v_pk_fma_f32 v[80:81], v[112:113], v[56:57], v[80:81]      // 0000000047D8: D3B04050 1D427170
	v_pk_fma_f32 v[82:83], v[114:115], v[56:57], v[82:83]      // 0000000047E0: D3B04052 1D4A7172
	v_pk_fma_f32 v[88:89], v[120:121], v[56:57], v[88:89]      // 0000000047E8: D3B04058 1D627178
	v_pk_fma_f32 v[90:91], v[122:123], v[56:57], v[90:91]      // 0000000047F0: D3B0405A 1D6A717A
	v_mul_f32_dpp v56, v24, v20 row_newbcast:0 row_mask:0xf bank_mask:0xf// 0000000047F8: 0A7028FA FF015018
	v_mov_b32_e32 v57, v56                                     // 000000004800: 7E720338
	v_pk_fma_f32 v[68:69], v[100:101], v[56:57], v[68:69]      // 000000004804: D3B04044 1D127164
	v_pk_fma_f32 v[70:71], v[102:103], v[56:57], v[70:71]      // 00000000480C: D3B04046 1D1A7166
	v_pk_fma_f32 v[76:77], v[108:109], v[56:57], v[76:77]      // 000000004814: D3B0404C 1D32716C
	v_pk_fma_f32 v[78:79], v[110:111], v[56:57], v[78:79]      // 00000000481C: D3B0404E 1D3A716E
	v_mul_f32_dpp v56, v24, v20 row_newbcast:1 row_mask:0xf bank_mask:0xf// 000000004824: 0A7028FA FF015118
	v_mov_b32_e32 v57, v56                                     // 00000000482C: 7E720338
	v_pk_fma_f32 v[84:85], v[116:117], v[56:57], v[84:85]      // 000000004830: D3B04054 1D527174
	v_pk_fma_f32 v[86:87], v[118:119], v[56:57], v[86:87]      // 000000004838: D3B04056 1D5A7176
	v_pk_fma_f32 v[92:93], v[124:125], v[56:57], v[92:93]      // 000000004840: D3B0405C 1D72717C
	v_pk_fma_f32 v[94:95], v[126:127], v[56:57], v[94:95]      // 000000004848: D3B0405E 1D7A717E
	s_waitcnt vmcnt(13)                                        // 000000004850: BF8C0F7D
	v_mfma_f32_16x16x32_fp8_fp8 v[96:99], a[72:73], v[232:233], 0// 000000004854: D3F30060 0A03D148
	v_mfma_f32_16x16x32_fp8_fp8 v[96:99], a[74:75], v[234:235], v[96:99]// 00000000485C: D3F30060 0D83D54A
	buffer_load_dwordx4 a[8:11], v44, s[24:27], 0 offen offset:2048// 000000004864: E05C1800 8086082C
	v_mfma_f32_16x16x32_fp8_fp8 v[96:99], a[76:77], v[236:237], v[96:99]// 00000000486C: D3F30060 0D83D94C
	v_mfma_f32_16x16x32_fp8_fp8 v[96:99], a[78:79], v[238:239], v[96:99]// 000000004874: D3F30060 0D83DD4E
	ds_read_b128 v[192:195], v2                                // 00000000487C: D9FE0000 C0000002
	ds_read_b32 v15, v3 offset:8320                            // 000000004884: D86C2080 0F000003
	v_mfma_f32_16x16x32_fp8_fp8 v[100:103], a[72:73], v[248:249], 0// 00000000488C: D3F30064 0A03F148
	v_mfma_f32_16x16x32_fp8_fp8 v[100:103], a[74:75], v[250:251], v[100:103]// 000000004894: D3F30064 0D93F54A
	buffer_load_dwordx4 a[12:15], v44, s[24:27], 0 offen offset:3072// 00000000489C: E05C1C00 80860C2C
	v_mfma_f32_16x16x32_fp8_fp8 v[100:103], a[76:77], v[252:253], v[100:103]// 0000000048A4: D3F30064 0D93F94C
	v_mfma_f32_16x16x32_fp8_fp8 v[100:103], a[78:79], v[254:255], v[100:103]// 0000000048AC: D3F30064 0D93FD4E
	ds_read_b128 v[196:199], v2 offset:64                      // 0000000048B4: D9FE0040 C4000002
	ds_read_b32 v16, v3 offset:8576                            // 0000000048BC: D86C2180 10000003
	v_mfma_f32_16x16x32_fp8_fp8 v[104:107], a[88:89], v[232:233], 0// 0000000048C4: D3F30068 0A03D158
	v_mfma_f32_16x16x32_fp8_fp8 v[104:107], a[90:91], v[234:235], v[104:107]// 0000000048CC: D3F30068 0DA3D55A
	buffer_load_dwordx4 a[24:27], v45, s[24:27], 0 offen offset:2048// 0000000048D4: E05C1800 8086182D
	v_mfma_f32_16x16x32_fp8_fp8 v[104:107], a[92:93], v[236:237], v[104:107]// 0000000048DC: D3F30068 0DA3D95C
	v_mfma_f32_16x16x32_fp8_fp8 v[104:107], a[94:95], v[238:239], v[104:107]// 0000000048E4: D3F30068 0DA3DD5E
	ds_read_b128 v[200:203], v2 offset:128                     // 0000000048EC: D9FE0080 C8000002
	ds_read_b32 v17, v3 offset:8832                            // 0000000048F4: D86C2280 11000003
	v_mfma_f32_16x16x32_fp8_fp8 v[108:111], a[88:89], v[248:249], 0// 0000000048FC: D3F3006C 0A03F158
	v_mfma_f32_16x16x32_fp8_fp8 v[108:111], a[90:91], v[250:251], v[108:111]// 000000004904: D3F3006C 0DB3F55A
	buffer_load_dwordx4 a[28:31], v45, s[24:27], 0 offen offset:3072// 00000000490C: E05C1C00 80861C2D
	v_mfma_f32_16x16x32_fp8_fp8 v[108:111], a[92:93], v[252:253], v[108:111]// 000000004914: D3F3006C 0DB3F95C
	v_mfma_f32_16x16x32_fp8_fp8 v[108:111], a[94:95], v[254:255], v[108:111]// 00000000491C: D3F3006C 0DB3FD5E
	ds_read_b128 v[204:207], v2 offset:192                     // 000000004924: D9FE00C0 CC000002
	ds_read_b32 v18, v3 offset:9088                            // 00000000492C: D86C2380 12000003
	s_waitcnt vmcnt(13)                                        // 000000004934: BF8C0F7D
	v_mfma_f32_16x16x32_fp8_fp8 v[112:115], a[104:105], v[232:233], 0// 000000004938: D3F30070 0A03D168
	v_mfma_f32_16x16x32_fp8_fp8 v[112:115], a[106:107], v[234:235], v[112:115]// 000000004940: D3F30070 0DC3D56A
	buffer_load_dwordx4 a[40:43], v46, s[24:27], 0 offen offset:2048// 000000004948: E05C1800 8086282E
	v_mfma_f32_16x16x32_fp8_fp8 v[112:115], a[108:109], v[236:237], v[112:115]// 000000004950: D3F30070 0DC3D96C
	v_mfma_f32_16x16x32_fp8_fp8 v[112:115], a[110:111], v[238:239], v[112:115]// 000000004958: D3F30070 0DC3DD6E
	ds_read_b128 v[208:211], v2 offset:1024                    // 000000004960: D9FE0400 D0000002
	v_mfma_f32_16x16x32_fp8_fp8 v[116:119], a[104:105], v[248:249], 0// 000000004968: D3F30074 0A03F168
	v_mfma_f32_16x16x32_fp8_fp8 v[116:119], a[106:107], v[250:251], v[116:119]// 000000004970: D3F30074 0DD3F56A
	buffer_load_dwordx4 a[44:47], v46, s[24:27], 0 offen offset:3072// 000000004978: E05C1C00 80862C2E
	v_mfma_f32_16x16x32_fp8_fp8 v[116:119], a[108:109], v[252:253], v[116:119]// 000000004980: D3F30074 0DD3F96C
	v_mfma_f32_16x16x32_fp8_fp8 v[116:119], a[110:111], v[254:255], v[116:119]// 000000004988: D3F30074 0DD3FD6E
	ds_read_b128 v[212:215], v2 offset:1088                    // 000000004990: D9FE0440 D4000002
	v_mfma_f32_16x16x32_fp8_fp8 v[120:123], a[120:121], v[232:233], 0// 000000004998: D3F30078 0A03D178
	v_mfma_f32_16x16x32_fp8_fp8 v[120:123], a[122:123], v[234:235], v[120:123]// 0000000049A0: D3F30078 0DE3D57A
	buffer_load_dwordx4 a[56:59], v47, s[24:27], 0 offen offset:2048// 0000000049A8: E05C1800 8086382F
	v_mfma_f32_16x16x32_fp8_fp8 v[120:123], a[124:125], v[236:237], v[120:123]// 0000000049B0: D3F30078 0DE3D97C
	v_mfma_f32_16x16x32_fp8_fp8 v[120:123], a[126:127], v[238:239], v[120:123]// 0000000049B8: D3F30078 0DE3DD7E
	ds_read_b128 v[216:219], v2 offset:1152                    // 0000000049C0: D9FE0480 D8000002
	v_mfma_f32_16x16x32_fp8_fp8 v[124:127], a[120:121], v[248:249], 0// 0000000049C8: D3F3007C 0A03F178
	v_mfma_f32_16x16x32_fp8_fp8 v[124:127], a[122:123], v[250:251], v[124:127]// 0000000049D0: D3F3007C 0DF3F57A
	buffer_load_dwordx4 a[60:63], v47, s[24:27], 0 offen offset:3072// 0000000049D8: E05C1C00 80863C2F
	v_mfma_f32_16x16x32_fp8_fp8 v[124:127], a[124:125], v[252:253], v[124:127]// 0000000049E0: D3F3007C 0DF3F97C
	v_mfma_f32_16x16x32_fp8_fp8 v[124:127], a[126:127], v[254:255], v[124:127]// 0000000049E8: D3F3007C 0DF3FD7E
	ds_read_b128 v[220:223], v2 offset:1216                    // 0000000049F0: D9FE04C0 DC000002
	v_mul_f32_dpp v56, v24, v21 row_newbcast:2 row_mask:0xf bank_mask:0xf// 0000000049F8: 0A702AFA FF015218
	v_mov_b32_e32 v57, v56                                     // 000000004A00: 7E720338
	v_pk_fma_f32 v[64:65], v[96:97], v[56:57], v[64:65]        // 000000004A04: D3B04040 1D027160
	v_pk_fma_f32 v[66:67], v[98:99], v[56:57], v[66:67]        // 000000004A0C: D3B04042 1D0A7162
	v_pk_fma_f32 v[72:73], v[104:105], v[56:57], v[72:73]      // 000000004A14: D3B04048 1D227168
	v_pk_fma_f32 v[74:75], v[106:107], v[56:57], v[74:75]      // 000000004A1C: D3B0404A 1D2A716A
	v_mul_f32_dpp v56, v24, v21 row_newbcast:3 row_mask:0xf bank_mask:0xf// 000000004A24: 0A702AFA FF015318
	v_mov_b32_e32 v57, v56                                     // 000000004A2C: 7E720338
	v_pk_fma_f32 v[80:81], v[112:113], v[56:57], v[80:81]      // 000000004A30: D3B04050 1D427170
	v_pk_fma_f32 v[82:83], v[114:115], v[56:57], v[82:83]      // 000000004A38: D3B04052 1D4A7172
	v_pk_fma_f32 v[88:89], v[120:121], v[56:57], v[88:89]      // 000000004A40: D3B04058 1D627178
	v_pk_fma_f32 v[90:91], v[122:123], v[56:57], v[90:91]      // 000000004A48: D3B0405A 1D6A717A
	v_mul_f32_dpp v56, v24, v22 row_newbcast:2 row_mask:0xf bank_mask:0xf// 000000004A50: 0A702CFA FF015218
	v_mov_b32_e32 v57, v56                                     // 000000004A58: 7E720338
	v_pk_fma_f32 v[68:69], v[100:101], v[56:57], v[68:69]      // 000000004A5C: D3B04044 1D127164
	v_pk_fma_f32 v[70:71], v[102:103], v[56:57], v[70:71]      // 000000004A64: D3B04046 1D1A7166
	v_pk_fma_f32 v[76:77], v[108:109], v[56:57], v[76:77]      // 000000004A6C: D3B0404C 1D32716C
	v_pk_fma_f32 v[78:79], v[110:111], v[56:57], v[78:79]      // 000000004A74: D3B0404E 1D3A716E
	v_mul_f32_dpp v56, v24, v22 row_newbcast:3 row_mask:0xf bank_mask:0xf// 000000004A7C: 0A702CFA FF015318
	v_mov_b32_e32 v57, v56                                     // 000000004A84: 7E720338
	v_pk_fma_f32 v[84:85], v[116:117], v[56:57], v[84:85]      // 000000004A88: D3B04054 1D527174
	v_pk_fma_f32 v[86:87], v[118:119], v[56:57], v[86:87]      // 000000004A90: D3B04056 1D5A7176
	v_pk_fma_f32 v[92:93], v[124:125], v[56:57], v[92:93]      // 000000004A98: D3B0405C 1D72717C
	v_pk_fma_f32 v[94:95], v[126:127], v[56:57], v[94:95]      // 000000004AA0: D3B0405E 1D7A717E
	s_add_u32 s60, 0x200, s80                                  // 000000004AA8: 803C50FF 00000200
	s_cmp_lt_u32 s60, s81                                      // 000000004AB0: BF0A513C
	s_cselect_b32 s57, s57, 0                                  // 000000004AB4: 85398039
	s_cselect_b32 s3, s3, 0                                    // 000000004AB8: 85038003
	s_add_u32 s60, 0x200, s80                                  // 000000004ABC: 803C50FF 00000200
	s_cmp_lt_u32 s60, s81                                      // 000000004AC4: BF0A513C
	s_cselect_b32 s58, s58, 0                                  // 000000004AC8: 853A803A
	s_add_u32 s20, s57, s20                                    // 000000004ACC: 80141439
	s_addc_u32 s21, 0, s21                                     // 000000004AD0: 82151580
	s_add_u32 s28, s3, s28                                     // 000000004AD4: 801C1C03
	s_addc_u32 s29, 0, s29                                     // 000000004AD8: 821D1D80
	s_add_u32 s24, s58, s24                                    // 000000004ADC: 8018183A
	s_addc_u32 s25, 0, s25                                     // 000000004AE0: 82191980
	s_add_u32 s92, s90, s92                                    // 000000004AE4: 805C5C5A
	s_addc_u32 s93, 0, s93                                     // 000000004AE8: 825D5D80
	s_addk_i32 s80, 0x100                                      // 000000004AEC: B7500100
	s_cmp_lt_i32 s80, s81                                      // 000000004AF0: BF045150
	s_cbranch_scc0 label_073F                                  // 000000004AF4: BF840001
	s_branch label_029E                                        // 000000004AF8: BF82FB5F

0000000000004afc <label_073F>:
	s_mov_b32 s20, 0                                           // 000000004AFC: BE940080
	s_cmp_lt_u32 s89, s66                                      // 000000004B00: BF0A4259
	s_cselect_b32 s60, 0, 1                                    // 000000004B04: 853C8180
	s_lshl1_add_u32 s20, s20, s60                              // 000000004B08: 97143C14
	s_cmp_lt_u32 s88, s66                                      // 000000004B0C: BF0A4258
	s_cselect_b32 s60, 0, 1                                    // 000000004B10: 853C8180
	s_lshl1_add_u32 s20, s20, s60                              // 000000004B14: 97143C14
	s_cmp_lt_u32 s87, s66                                      // 000000004B18: BF0A4257
	s_cselect_b32 s60, 0, 1                                    // 000000004B1C: 853C8180
	s_lshl1_add_u32 s20, s20, s60                              // 000000004B20: 97143C14
	s_cmp_lt_u32 s86, s66                                      // 000000004B24: BF0A4256
	s_cselect_b32 s60, 0, 1                                    // 000000004B28: 853C8180
	s_lshl1_add_u32 s20, s20, s60                              // 000000004B2C: 97143C14
	s_cmp_lt_u32 s85, s66                                      // 000000004B30: BF0A4255
	s_cselect_b32 s60, 0, 1                                    // 000000004B34: 853C8180
	s_lshl1_add_u32 s20, s20, s60                              // 000000004B38: 97143C14
	s_cmp_lt_u32 s84, s66                                      // 000000004B3C: BF0A4254
	s_cselect_b32 s60, 0, 1                                    // 000000004B40: 853C8180
	s_lshl1_add_u32 s20, s20, s60                              // 000000004B44: 97143C14
	s_cmp_lt_u32 s83, s66                                      // 000000004B48: BF0A4253
	s_cselect_b32 s60, 0, 1                                    // 000000004B4C: 853C8180
	s_lshl1_add_u32 s20, s20, s60                              // 000000004B50: 97143C14
	s_cmp_lt_u32 s82, s66                                      // 000000004B54: BF0A4252
	s_cselect_b32 s60, 0, 1                                    // 000000004B58: 853C8180
	s_lshl1_add_u32 s20, s20, s60                              // 000000004B5C: 97143C14
	s_waitcnt vmcnt(12)                                        // 000000004B60: BF8C0F7C
	buffer_load_dwordx4 a[0:3], v48, s[12:15], 0 offen         // 000000004B64: E05C1000 80830030
	v_mul_f32_e64 v56, -v128, s6                               // 000000004B6C: D1050038 20000D80
	v_mul_f32_e64 v57, -v129, s6                               // 000000004B74: D1050039 20000D81
	v_mul_f32_e64 v58, -v130, s6                               // 000000004B7C: D105003A 20000D82
	v_mul_f32_e64 v59, -v131, s6                               // 000000004B84: D105003B 20000D83
	v_exp_f32_e32 v56, v56                                     // 000000004B8C: 7E704138
	v_exp_f32_e32 v57, v57                                     // 000000004B90: 7E724139
	v_exp_f32_e32 v58, v58                                     // 000000004B94: 7E74413A
	v_exp_f32_e32 v59, v59                                     // 000000004B98: 7E76413B
	buffer_load_dwordx4 a[4:7], v49, s[12:15], 0 offen         // 000000004B9C: E05C1000 80830431
	v_add_f32_e64 v56, v56, 1.0                                // 000000004BA4: D1010038 0001E538
	v_add_f32_e64 v57, v57, 1.0                                // 000000004BAC: D1010039 0001E539
	v_add_f32_e64 v58, v58, 1.0                                // 000000004BB4: D101003A 0001E53A
	v_add_f32_e64 v59, v59, 1.0                                // 000000004BBC: D101003B 0001E53B
	v_rcp_f32_e32 v56, v56                                     // 000000004BC4: 7E704538
	v_rcp_f32_e32 v57, v57                                     // 000000004BC8: 7E724539
	v_rcp_f32_e32 v58, v58                                     // 000000004BCC: 7E74453A
	v_rcp_f32_e32 v59, v59                                     // 000000004BD0: 7E76453B
	v_mul_f32_e32 v128, v128, v56                              // 000000004BD4: 0B007180
	v_mul_f32_e32 v129, v129, v57                              // 000000004BD8: 0B027381
	v_mul_f32_e32 v130, v130, v58                              // 000000004BDC: 0B047582
	v_mul_f32_e32 v131, v131, v59                              // 000000004BE0: 0B067783
	v_mul_f32_e32 v128, v128, v64                              // 000000004BE4: 0B008180
	v_mul_f32_e32 v129, v129, v65                              // 000000004BE8: 0B028381
	v_mul_f32_e32 v130, v130, v66                              // 000000004BEC: 0B048582
	v_mul_f32_e32 v131, v131, v67                              // 000000004BF0: 0B068783
	buffer_load_dwordx4 a[8:11], v50, s[12:15], 0 offen        // 000000004BF4: E05C1000 80830832
	v_mul_f32_e64 v56, -v132, s6                               // 000000004BFC: D1050038 20000D84
	v_mul_f32_e64 v57, -v133, s6                               // 000000004C04: D1050039 20000D85
	v_mul_f32_e64 v58, -v134, s6                               // 000000004C0C: D105003A 20000D86
	v_mul_f32_e64 v59, -v135, s6                               // 000000004C14: D105003B 20000D87
	v_exp_f32_e32 v56, v56                                     // 000000004C1C: 7E704138
	v_exp_f32_e32 v57, v57                                     // 000000004C20: 7E724139
	v_exp_f32_e32 v58, v58                                     // 000000004C24: 7E74413A
	v_exp_f32_e32 v59, v59                                     // 000000004C28: 7E76413B
	buffer_load_dwordx4 a[12:15], v51, s[12:15], 0 offen       // 000000004C2C: E05C1000 80830C33
	s_add_u32 s12, s78, s12                                    // 000000004C34: 800C0C4E
	s_addc_u32 s13, 0, s13                                     // 000000004C38: 820D0D80
	v_add_f32_e64 v56, v56, 1.0                                // 000000004C3C: D1010038 0001E538
	v_add_f32_e64 v57, v57, 1.0                                // 000000004C44: D1010039 0001E539
	v_add_f32_e64 v58, v58, 1.0                                // 000000004C4C: D101003A 0001E53A
	v_add_f32_e64 v59, v59, 1.0                                // 000000004C54: D101003B 0001E53B
	v_rcp_f32_e32 v56, v56                                     // 000000004C5C: 7E704538
	v_rcp_f32_e32 v57, v57                                     // 000000004C60: 7E724539
	v_rcp_f32_e32 v58, v58                                     // 000000004C64: 7E74453A
	v_rcp_f32_e32 v59, v59                                     // 000000004C68: 7E76453B
	v_mul_f32_e32 v132, v132, v56                              // 000000004C6C: 0B087184
	v_mul_f32_e32 v133, v133, v57                              // 000000004C70: 0B0A7385
	v_mul_f32_e32 v134, v134, v58                              // 000000004C74: 0B0C7586
	v_mul_f32_e32 v135, v135, v59                              // 000000004C78: 0B0E7787
	v_mul_f32_e32 v132, v132, v68                              // 000000004C7C: 0B088984
	v_mul_f32_e32 v133, v133, v69                              // 000000004C80: 0B0A8B85
	v_mul_f32_e32 v134, v134, v70                              // 000000004C84: 0B0C8D86
	v_mul_f32_e32 v135, v135, v71                              // 000000004C88: 0B0E8F87
	s_waitcnt vmcnt(12)                                        // 000000004C8C: BF8C0F7C
	buffer_load_dwordx4 a[16:19], v48, s[12:15], 0 offen       // 000000004C90: E05C1000 80831030
	v_mul_f32_e64 v56, -v136, s6                               // 000000004C98: D1050038 20000D88
	v_mul_f32_e64 v57, -v137, s6                               // 000000004CA0: D1050039 20000D89
	v_mul_f32_e64 v58, -v138, s6                               // 000000004CA8: D105003A 20000D8A
	v_mul_f32_e64 v59, -v139, s6                               // 000000004CB0: D105003B 20000D8B
	v_exp_f32_e32 v56, v56                                     // 000000004CB8: 7E704138
	v_exp_f32_e32 v57, v57                                     // 000000004CBC: 7E724139
	v_exp_f32_e32 v58, v58                                     // 000000004CC0: 7E74413A
	v_exp_f32_e32 v59, v59                                     // 000000004CC4: 7E76413B
	buffer_load_dwordx4 a[20:23], v49, s[12:15], 0 offen       // 000000004CC8: E05C1000 80831431
	v_add_f32_e64 v56, v56, 1.0                                // 000000004CD0: D1010038 0001E538
	v_add_f32_e64 v57, v57, 1.0                                // 000000004CD8: D1010039 0001E539
	v_add_f32_e64 v58, v58, 1.0                                // 000000004CE0: D101003A 0001E53A
	v_add_f32_e64 v59, v59, 1.0                                // 000000004CE8: D101003B 0001E53B
	v_rcp_f32_e32 v56, v56                                     // 000000004CF0: 7E704538
	v_rcp_f32_e32 v57, v57                                     // 000000004CF4: 7E724539
	v_rcp_f32_e32 v58, v58                                     // 000000004CF8: 7E74453A
	v_rcp_f32_e32 v59, v59                                     // 000000004CFC: 7E76453B
	v_mul_f32_e32 v136, v136, v56                              // 000000004D00: 0B107188
	v_mul_f32_e32 v137, v137, v57                              // 000000004D04: 0B127389
	v_mul_f32_e32 v138, v138, v58                              // 000000004D08: 0B14758A
	v_mul_f32_e32 v139, v139, v59                              // 000000004D0C: 0B16778B
	v_mul_f32_e32 v136, v136, v72                              // 000000004D10: 0B109188
	v_mul_f32_e32 v137, v137, v73                              // 000000004D14: 0B129389
	v_mul_f32_e32 v138, v138, v74                              // 000000004D18: 0B14958A
	v_mul_f32_e32 v139, v139, v75                              // 000000004D1C: 0B16978B
	buffer_load_dwordx4 a[24:27], v50, s[12:15], 0 offen       // 000000004D20: E05C1000 80831832
	v_mul_f32_e64 v56, -v140, s6                               // 000000004D28: D1050038 20000D8C
	v_mul_f32_e64 v57, -v141, s6                               // 000000004D30: D1050039 20000D8D
	v_mul_f32_e64 v58, -v142, s6                               // 000000004D38: D105003A 20000D8E
	v_mul_f32_e64 v59, -v143, s6                               // 000000004D40: D105003B 20000D8F
	v_exp_f32_e32 v56, v56                                     // 000000004D48: 7E704138
	v_exp_f32_e32 v57, v57                                     // 000000004D4C: 7E724139
	v_exp_f32_e32 v58, v58                                     // 000000004D50: 7E74413A
	v_exp_f32_e32 v59, v59                                     // 000000004D54: 7E76413B
	buffer_load_dwordx4 a[28:31], v51, s[12:15], 0 offen       // 000000004D58: E05C1000 80831C33
	s_add_u32 s12, s78, s12                                    // 000000004D60: 800C0C4E
	s_addc_u32 s13, 0, s13                                     // 000000004D64: 820D0D80
	v_add_f32_e64 v56, v56, 1.0                                // 000000004D68: D1010038 0001E538
	v_add_f32_e64 v57, v57, 1.0                                // 000000004D70: D1010039 0001E539
	v_add_f32_e64 v58, v58, 1.0                                // 000000004D78: D101003A 0001E53A
	v_add_f32_e64 v59, v59, 1.0                                // 000000004D80: D101003B 0001E53B
	v_rcp_f32_e32 v56, v56                                     // 000000004D88: 7E704538
	v_rcp_f32_e32 v57, v57                                     // 000000004D8C: 7E724539
	v_rcp_f32_e32 v58, v58                                     // 000000004D90: 7E74453A
	v_rcp_f32_e32 v59, v59                                     // 000000004D94: 7E76453B
	v_mul_f32_e32 v140, v140, v56                              // 000000004D98: 0B18718C
	v_mul_f32_e32 v141, v141, v57                              // 000000004D9C: 0B1A738D
	v_mul_f32_e32 v142, v142, v58                              // 000000004DA0: 0B1C758E
	v_mul_f32_e32 v143, v143, v59                              // 000000004DA4: 0B1E778F
	v_mul_f32_e32 v140, v140, v76                              // 000000004DA8: 0B18998C
	v_mul_f32_e32 v141, v141, v77                              // 000000004DAC: 0B1A9B8D
	v_mul_f32_e32 v142, v142, v78                              // 000000004DB0: 0B1C9D8E
	v_mul_f32_e32 v143, v143, v79                              // 000000004DB4: 0B1E9F8F
	s_waitcnt vmcnt(12)                                        // 000000004DB8: BF8C0F7C
	buffer_load_dwordx4 a[32:35], v48, s[12:15], 0 offen       // 000000004DBC: E05C1000 80832030
	v_mul_f32_e64 v56, -v144, s6                               // 000000004DC4: D1050038 20000D90
	v_mul_f32_e64 v57, -v145, s6                               // 000000004DCC: D1050039 20000D91
	v_mul_f32_e64 v58, -v146, s6                               // 000000004DD4: D105003A 20000D92
	v_mul_f32_e64 v59, -v147, s6                               // 000000004DDC: D105003B 20000D93
	v_exp_f32_e32 v56, v56                                     // 000000004DE4: 7E704138
	v_exp_f32_e32 v57, v57                                     // 000000004DE8: 7E724139
	v_exp_f32_e32 v58, v58                                     // 000000004DEC: 7E74413A
	v_exp_f32_e32 v59, v59                                     // 000000004DF0: 7E76413B
	buffer_load_dwordx4 a[36:39], v49, s[12:15], 0 offen       // 000000004DF4: E05C1000 80832431
	v_add_f32_e64 v56, v56, 1.0                                // 000000004DFC: D1010038 0001E538
	v_add_f32_e64 v57, v57, 1.0                                // 000000004E04: D1010039 0001E539
	v_add_f32_e64 v58, v58, 1.0                                // 000000004E0C: D101003A 0001E53A
	v_add_f32_e64 v59, v59, 1.0                                // 000000004E14: D101003B 0001E53B
	v_rcp_f32_e32 v56, v56                                     // 000000004E1C: 7E704538
	v_rcp_f32_e32 v57, v57                                     // 000000004E20: 7E724539
	v_rcp_f32_e32 v58, v58                                     // 000000004E24: 7E74453A
	v_rcp_f32_e32 v59, v59                                     // 000000004E28: 7E76453B
	v_mul_f32_e32 v144, v144, v56                              // 000000004E2C: 0B207190
	v_mul_f32_e32 v145, v145, v57                              // 000000004E30: 0B227391
	v_mul_f32_e32 v146, v146, v58                              // 000000004E34: 0B247592
	v_mul_f32_e32 v147, v147, v59                              // 000000004E38: 0B267793
	v_mul_f32_e32 v144, v144, v80                              // 000000004E3C: 0B20A190
	v_mul_f32_e32 v145, v145, v81                              // 000000004E40: 0B22A391
	v_mul_f32_e32 v146, v146, v82                              // 000000004E44: 0B24A592
	v_mul_f32_e32 v147, v147, v83                              // 000000004E48: 0B26A793
	buffer_load_dwordx4 a[40:43], v50, s[12:15], 0 offen       // 000000004E4C: E05C1000 80832832
	v_mul_f32_e64 v56, -v148, s6                               // 000000004E54: D1050038 20000D94
	v_mul_f32_e64 v57, -v149, s6                               // 000000004E5C: D1050039 20000D95
	v_mul_f32_e64 v58, -v150, s6                               // 000000004E64: D105003A 20000D96
	v_mul_f32_e64 v59, -v151, s6                               // 000000004E6C: D105003B 20000D97
	v_exp_f32_e32 v56, v56                                     // 000000004E74: 7E704138
	v_exp_f32_e32 v57, v57                                     // 000000004E78: 7E724139
	v_exp_f32_e32 v58, v58                                     // 000000004E7C: 7E74413A
	v_exp_f32_e32 v59, v59                                     // 000000004E80: 7E76413B
	buffer_load_dwordx4 a[44:47], v51, s[12:15], 0 offen       // 000000004E84: E05C1000 80832C33
	s_add_u32 s12, s78, s12                                    // 000000004E8C: 800C0C4E
	s_addc_u32 s13, 0, s13                                     // 000000004E90: 820D0D80
	v_add_f32_e64 v56, v56, 1.0                                // 000000004E94: D1010038 0001E538
	v_add_f32_e64 v57, v57, 1.0                                // 000000004E9C: D1010039 0001E539
	v_add_f32_e64 v58, v58, 1.0                                // 000000004EA4: D101003A 0001E53A
	v_add_f32_e64 v59, v59, 1.0                                // 000000004EAC: D101003B 0001E53B
	v_rcp_f32_e32 v56, v56                                     // 000000004EB4: 7E704538
	v_rcp_f32_e32 v57, v57                                     // 000000004EB8: 7E724539
	v_rcp_f32_e32 v58, v58                                     // 000000004EBC: 7E74453A
	v_rcp_f32_e32 v59, v59                                     // 000000004EC0: 7E76453B
	v_mul_f32_e32 v148, v148, v56                              // 000000004EC4: 0B287194
	v_mul_f32_e32 v149, v149, v57                              // 000000004EC8: 0B2A7395
	v_mul_f32_e32 v150, v150, v58                              // 000000004ECC: 0B2C7596
	v_mul_f32_e32 v151, v151, v59                              // 000000004ED0: 0B2E7797
	v_mul_f32_e32 v148, v148, v84                              // 000000004ED4: 0B28A994
	v_mul_f32_e32 v149, v149, v85                              // 000000004ED8: 0B2AAB95
	v_mul_f32_e32 v150, v150, v86                              // 000000004EDC: 0B2CAD96
	v_mul_f32_e32 v151, v151, v87                              // 000000004EE0: 0B2EAF97
	s_waitcnt vmcnt(12)                                        // 000000004EE4: BF8C0F7C
	buffer_load_dwordx4 a[48:51], v48, s[12:15], 0 offen       // 000000004EE8: E05C1000 80833030
	v_mul_f32_e64 v56, -v152, s6                               // 000000004EF0: D1050038 20000D98
	v_mul_f32_e64 v57, -v153, s6                               // 000000004EF8: D1050039 20000D99
	v_mul_f32_e64 v58, -v154, s6                               // 000000004F00: D105003A 20000D9A
	v_mul_f32_e64 v59, -v155, s6                               // 000000004F08: D105003B 20000D9B
	v_exp_f32_e32 v56, v56                                     // 000000004F10: 7E704138
	v_exp_f32_e32 v57, v57                                     // 000000004F14: 7E724139
	v_exp_f32_e32 v58, v58                                     // 000000004F18: 7E74413A
	v_exp_f32_e32 v59, v59                                     // 000000004F1C: 7E76413B
	buffer_load_dwordx4 a[52:55], v49, s[12:15], 0 offen       // 000000004F20: E05C1000 80833431
	v_add_f32_e64 v56, v56, 1.0                                // 000000004F28: D1010038 0001E538
	v_add_f32_e64 v57, v57, 1.0                                // 000000004F30: D1010039 0001E539
	v_add_f32_e64 v58, v58, 1.0                                // 000000004F38: D101003A 0001E53A
	v_add_f32_e64 v59, v59, 1.0                                // 000000004F40: D101003B 0001E53B
	v_rcp_f32_e32 v56, v56                                     // 000000004F48: 7E704538
	v_rcp_f32_e32 v57, v57                                     // 000000004F4C: 7E724539
	v_rcp_f32_e32 v58, v58                                     // 000000004F50: 7E74453A
	v_rcp_f32_e32 v59, v59                                     // 000000004F54: 7E76453B
	v_mul_f32_e32 v152, v152, v56                              // 000000004F58: 0B307198
	v_mul_f32_e32 v153, v153, v57                              // 000000004F5C: 0B327399
	v_mul_f32_e32 v154, v154, v58                              // 000000004F60: 0B34759A
	v_mul_f32_e32 v155, v155, v59                              // 000000004F64: 0B36779B
	v_mul_f32_e32 v152, v152, v88                              // 000000004F68: 0B30B198
	v_mul_f32_e32 v153, v153, v89                              // 000000004F6C: 0B32B399
	v_mul_f32_e32 v154, v154, v90                              // 000000004F70: 0B34B59A
	v_mul_f32_e32 v155, v155, v91                              // 000000004F74: 0B36B79B
	buffer_load_dwordx4 a[56:59], v50, s[12:15], 0 offen       // 000000004F78: E05C1000 80833832
	v_mul_f32_e64 v56, -v156, s6                               // 000000004F80: D1050038 20000D9C
	v_mul_f32_e64 v57, -v157, s6                               // 000000004F88: D1050039 20000D9D
	v_mul_f32_e64 v58, -v158, s6                               // 000000004F90: D105003A 20000D9E
	v_mul_f32_e64 v59, -v159, s6                               // 000000004F98: D105003B 20000D9F
	v_exp_f32_e32 v56, v56                                     // 000000004FA0: 7E704138
	v_exp_f32_e32 v57, v57                                     // 000000004FA4: 7E724139
	v_exp_f32_e32 v58, v58                                     // 000000004FA8: 7E74413A
	v_exp_f32_e32 v59, v59                                     // 000000004FAC: 7E76413B
	buffer_load_dwordx4 a[60:63], v51, s[12:15], 0 offen       // 000000004FB0: E05C1000 80833C33
	v_add_f32_e64 v56, v56, 1.0                                // 000000004FB8: D1010038 0001E538
	v_add_f32_e64 v57, v57, 1.0                                // 000000004FC0: D1010039 0001E539
	v_add_f32_e64 v58, v58, 1.0                                // 000000004FC8: D101003A 0001E53A
	v_add_f32_e64 v59, v59, 1.0                                // 000000004FD0: D101003B 0001E53B
	v_rcp_f32_e32 v56, v56                                     // 000000004FD8: 7E704538
	v_rcp_f32_e32 v57, v57                                     // 000000004FDC: 7E724539
	v_rcp_f32_e32 v58, v58                                     // 000000004FE0: 7E74453A
	v_rcp_f32_e32 v59, v59                                     // 000000004FE4: 7E76453B
	v_mul_f32_e32 v156, v156, v56                              // 000000004FE8: 0B38719C
	v_mul_f32_e32 v157, v157, v57                              // 000000004FEC: 0B3A739D
	v_mul_f32_e32 v158, v158, v58                              // 000000004FF0: 0B3C759E
	v_mul_f32_e32 v159, v159, v59                              // 000000004FF4: 0B3E779F
	v_mul_f32_e32 v156, v156, v92                              // 000000004FF8: 0B38B99C
	v_mul_f32_e32 v157, v157, v93                              // 000000004FFC: 0B3ABB9D
	v_mul_f32_e32 v158, v158, v94                              // 000000005000: 0B3CBD9E
	v_mul_f32_e32 v159, v159, v95                              // 000000005004: 0B3EBF9F
	v_lshlrev_b32_e32 v56, 2, v0                               // 000000005008: 24700082
	s_mul_i32 s60, s82, s71                                    // 00000000500C: 923C4752
	v_add_u32_e64 v80, v56, s60                                // 000000005010: D1340050 00007938
	v_mov_b32_e32 v81, 0                                       // 000000005018: 7EA20280
	s_mul_i32 s60, s83, s71                                    // 00000000501C: 923C4753
	v_add_u32_e64 v82, v56, s60                                // 000000005020: D1340052 00007938
	v_mov_b32_e32 v83, 0                                       // 000000005028: 7EA60280
	s_mul_i32 s60, s84, s71                                    // 00000000502C: 923C4754
	v_add_u32_e64 v84, v56, s60                                // 000000005030: D1340054 00007938
	v_mov_b32_e32 v85, 0                                       // 000000005038: 7EAA0280
	s_mul_i32 s60, s85, s71                                    // 00000000503C: 923C4755
	v_add_u32_e64 v86, v56, s60                                // 000000005040: D1340056 00007938
	v_mov_b32_e32 v87, 0                                       // 000000005048: 7EAE0280
	s_mul_i32 s60, s86, s71                                    // 00000000504C: 923C4756
	v_add_u32_e64 v88, v56, s60                                // 000000005050: D1340058 00007938
	v_mov_b32_e32 v89, 0                                       // 000000005058: 7EB20280
	s_mul_i32 s60, s87, s71                                    // 00000000505C: 923C4757
	v_add_u32_e64 v90, v56, s60                                // 000000005060: D134005A 00007938
	v_mov_b32_e32 v91, 0                                       // 000000005068: 7EB60280
	s_mul_i32 s60, s88, s71                                    // 00000000506C: 923C4758
	v_add_u32_e64 v92, v56, s60                                // 000000005070: D134005C 00007938
	v_mov_b32_e32 v93, 0                                       // 000000005078: 7EBA0280
	s_mul_i32 s60, s89, s71                                    // 00000000507C: 923C4759
	v_add_u32_e64 v94, v56, s60                                // 000000005080: D134005E 00007938
	v_mov_b32_e32 v95, 0                                       // 000000005088: 7EBE0280
	buffer_load_dword v23, v6, s[16:19], 0 offen               // 00000000508C: E0501000 80041706
	v_mov_b32_e32 v28, 0x358637bd                              // 000000005094: 7E3802FF 358637BD
	v_mov_b32_e32 v29, 0x358637bd                              // 00000000509C: 7E3A02FF 358637BD
	v_max3_f32 v28, |v128|, |v129|, v28                        // 0000000050A4: D1D3031C 04730380
	v_max3_f32 v28, |v130|, |v131|, v28                        // 0000000050AC: D1D3031C 04730782
	v_max3_f32 v29, |v132|, |v133|, v29                        // 0000000050B4: D1D3031D 04770B84
	v_max3_f32 v29, |v134|, |v135|, v29                        // 0000000050BC: D1D3031D 04770F86
	v_max3_f32 v28, |v136|, |v137|, v28                        // 0000000050C4: D1D3031C 04731388
	v_max3_f32 v28, |v138|, |v139|, v28                        // 0000000050CC: D1D3031C 0473178A
	v_max3_f32 v29, |v140|, |v141|, v29                        // 0000000050D4: D1D3031D 04771B8C
	v_max3_f32 v29, |v142|, |v143|, v29                        // 0000000050DC: D1D3031D 04771F8E
	v_lshlrev_b32_e32 v56, 3, v0                               // 0000000050E4: 24700083
	s_mul_i32 s60, 0x200, s7                                   // 0000000050E8: 923C07FF 00000200
	v_add_u32_e32 v56, s60, v56                                // 0000000050F0: 6870703C
	ds_write_b64 v56, v[28:29] offset:18688                    // 0000000050F4: D89A4900 00001C38
	s_waitcnt lgkmcnt(0)                                       // 0000000050FC: BF8CC07F
	s_barrier                                                  // 000000005100: BF8A0000
	v_and_b32_e32 v56, 15, v0                                  // 000000005104: 2670008F
	v_lshlrev_b32_e32 v56, 3, v56                              // 000000005108: 24707083
	ds_read_b64 v[96:97], v56 offset:18688                     // 00000000510C: D8EC4900 60000038
	ds_read_b64 v[98:99], v56 offset:18816                     // 000000005114: D8EC4980 62000038
	ds_read_b64 v[100:101], v56 offset:18944                   // 00000000511C: D8EC4A00 64000038
	ds_read_b64 v[102:103], v56 offset:19072                   // 000000005124: D8EC4A80 66000038
	ds_read_b64 v[104:105], v56 offset:19200                   // 00000000512C: D8EC4B00 68000038
	ds_read_b64 v[106:107], v56 offset:19328                   // 000000005134: D8EC4B80 6A000038
	ds_read_b64 v[108:109], v56 offset:19456                   // 00000000513C: D8EC4C00 6C000038
	ds_read_b64 v[110:111], v56 offset:19584                   // 000000005144: D8EC4C80 6E000038
	ds_read_b64 v[112:113], v56 offset:19712                   // 00000000514C: D8EC4D00 70000038
	ds_read_b64 v[114:115], v56 offset:19840                   // 000000005154: D8EC4D80 72000038
	ds_read_b64 v[116:117], v56 offset:19968                   // 00000000515C: D8EC4E00 74000038
	ds_read_b64 v[118:119], v56 offset:20096                   // 000000005164: D8EC4E80 76000038
	ds_read_b64 v[120:121], v56 offset:20224                   // 00000000516C: D8EC4F00 78000038
	ds_read_b64 v[122:123], v56 offset:20352                   // 000000005174: D8EC4F80 7A000038
	ds_read_b64 v[124:125], v56 offset:20480                   // 00000000517C: D8EC5000 7C000038
	ds_read_b64 v[126:127], v56 offset:20608                   // 000000005184: D8EC5080 7E000038
	s_waitcnt lgkmcnt(0)                                       // 00000000518C: BF8CC07F
	v_max3_f32 v28, |v96|, |v98|, v28                          // 000000005190: D1D3031C 0472C560
	v_max3_f32 v29, |v97|, |v99|, v29                          // 000000005198: D1D3031D 0476C761
	v_max3_f32 v28, |v100|, |v102|, v28                        // 0000000051A0: D1D3031C 0472CD64
	v_max3_f32 v29, |v101|, |v103|, v29                        // 0000000051A8: D1D3031D 0476CF65
	v_max3_f32 v28, |v104|, |v106|, v28                        // 0000000051B0: D1D3031C 0472D568
	v_max3_f32 v29, |v105|, |v107|, v29                        // 0000000051B8: D1D3031D 0476D769
	v_max3_f32 v28, |v108|, |v110|, v28                        // 0000000051C0: D1D3031C 0472DD6C
	v_max3_f32 v29, |v109|, |v111|, v29                        // 0000000051C8: D1D3031D 0476DF6D
	v_max3_f32 v28, |v112|, |v114|, v28                        // 0000000051D0: D1D3031C 0472E570
	v_max3_f32 v29, |v113|, |v115|, v29                        // 0000000051D8: D1D3031D 0476E771
	v_max3_f32 v28, |v116|, |v118|, v28                        // 0000000051E0: D1D3031C 0472ED74
	v_max3_f32 v29, |v117|, |v119|, v29                        // 0000000051E8: D1D3031D 0476EF75
	v_max3_f32 v28, |v120|, |v122|, v28                        // 0000000051F0: D1D3031C 0472F578
	v_max3_f32 v29, |v121|, |v123|, v29                        // 0000000051F8: D1D3031D 0476F779
	v_max3_f32 v28, |v124|, |v126|, v28                        // 000000005200: D1D3031C 0472FD7C
	v_max3_f32 v29, |v125|, |v127|, v29                        // 000000005208: D1D3031D 0476FF7D
	v_rcp_f32_e32 v28, v28                                     // 000000005210: 7E38451C
	v_rcp_f32_e32 v29, v29                                     // 000000005214: 7E3A451D
	v_mov_b32_e32 v56, 0x43700000                              // 000000005218: 7E7002FF 43700000
	v_mul_f32_e32 v28, v56, v28                                // 000000005220: 0A383938
	v_mul_f32_e32 v29, v56, v29                                // 000000005224: 0A3A3B38
	v_mul_f32_e32 v128, v28, v128                              // 000000005228: 0B01011C
	v_mul_f32_e32 v129, v28, v129                              // 00000000522C: 0B03031C
	v_mul_f32_e32 v130, v28, v130                              // 000000005230: 0B05051C
	v_mul_f32_e32 v131, v28, v131                              // 000000005234: 0B07071C
	v_cvt_pk_fp8_f32 v128, v128, v129                          // 000000005238: D2A20080 00030380
	v_cvt_pk_fp8_f32 v128, v130, v131 op_sel:[0,0,1]           // 000000005240: D2A24080 00030782
	v_mul_f32_e32 v132, v29, v132                              // 000000005248: 0B09091D
	v_mul_f32_e32 v133, v29, v133                              // 00000000524C: 0B0B0B1D
	v_mul_f32_e32 v134, v29, v134                              // 000000005250: 0B0D0D1D
	v_mul_f32_e32 v135, v29, v135                              // 000000005254: 0B0F0F1D
	v_cvt_pk_fp8_f32 v129, v132, v133                          // 000000005258: D2A20081 00030B84
	v_cvt_pk_fp8_f32 v129, v134, v135 op_sel:[0,0,1]           // 000000005260: D2A24081 00030F86
	v_mul_f32_e32 v136, v28, v136                              // 000000005268: 0B11111C
	v_mul_f32_e32 v137, v28, v137                              // 00000000526C: 0B13131C
	v_mul_f32_e32 v138, v28, v138                              // 000000005270: 0B15151C
	v_mul_f32_e32 v139, v28, v139                              // 000000005274: 0B17171C
	v_cvt_pk_fp8_f32 v130, v136, v137                          // 000000005278: D2A20082 00031388
	v_cvt_pk_fp8_f32 v130, v138, v139 op_sel:[0,0,1]           // 000000005280: D2A24082 0003178A
	v_mul_f32_e32 v140, v29, v140                              // 000000005288: 0B19191D
	v_mul_f32_e32 v141, v29, v141                              // 00000000528C: 0B1B1B1D
	v_mul_f32_e32 v142, v29, v142                              // 000000005290: 0B1D1D1D
	v_mul_f32_e32 v143, v29, v143                              // 000000005294: 0B1F1F1D
	v_cvt_pk_fp8_f32 v131, v140, v141                          // 000000005298: D2A20083 00031B8C
	v_cvt_pk_fp8_f32 v131, v142, v143 op_sel:[0,0,1]           // 0000000052A0: D2A24083 00031F8E
	v_rcp_f32_e32 v32, v28                                     // 0000000052A8: 7E40451C
	v_rcp_f32_e32 v33, v29                                     // 0000000052AC: 7E42451D
	v_mov_b32_e32 v30, 0x358637bd                              // 0000000052B0: 7E3C02FF 358637BD
	v_mov_b32_e32 v31, 0x358637bd                              // 0000000052B8: 7E3E02FF 358637BD
	v_max3_f32 v30, |v144|, |v145|, v30                        // 0000000052C0: D1D3031E 047B2390
	v_max3_f32 v30, |v146|, |v147|, v30                        // 0000000052C8: D1D3031E 047B2792
	v_max3_f32 v31, |v148|, |v149|, v31                        // 0000000052D0: D1D3031F 047F2B94
	v_max3_f32 v31, |v150|, |v151|, v31                        // 0000000052D8: D1D3031F 047F2F96
	v_max3_f32 v30, |v152|, |v153|, v30                        // 0000000052E0: D1D3031E 047B3398
	v_max3_f32 v30, |v154|, |v155|, v30                        // 0000000052E8: D1D3031E 047B379A
	v_max3_f32 v31, |v156|, |v157|, v31                        // 0000000052F0: D1D3031F 047F3B9C
	v_max3_f32 v31, |v158|, |v159|, v31                        // 0000000052F8: D1D3031F 047F3F9E
	v_lshlrev_b32_e32 v56, 3, v0                               // 000000005300: 24700083
	s_mul_i32 s60, 0x200, s7                                   // 000000005304: 923C07FF 00000200
	v_add_u32_e32 v56, s60, v56                                // 00000000530C: 6870703C
	ds_write_b64 v56, v[30:31] offset:18688                    // 000000005310: D89A4900 00001E38
	s_waitcnt lgkmcnt(0)                                       // 000000005318: BF8CC07F
	s_barrier                                                  // 00000000531C: BF8A0000
	v_and_b32_e32 v56, 15, v0                                  // 000000005320: 2670008F
	v_lshlrev_b32_e32 v56, 3, v56                              // 000000005324: 24707083
	ds_read_b64 v[96:97], v56 offset:18688                     // 000000005328: D8EC4900 60000038
	ds_read_b64 v[98:99], v56 offset:18816                     // 000000005330: D8EC4980 62000038
	ds_read_b64 v[100:101], v56 offset:18944                   // 000000005338: D8EC4A00 64000038
	ds_read_b64 v[102:103], v56 offset:19072                   // 000000005340: D8EC4A80 66000038
	ds_read_b64 v[104:105], v56 offset:19200                   // 000000005348: D8EC4B00 68000038
	ds_read_b64 v[106:107], v56 offset:19328                   // 000000005350: D8EC4B80 6A000038
	ds_read_b64 v[108:109], v56 offset:19456                   // 000000005358: D8EC4C00 6C000038
	ds_read_b64 v[110:111], v56 offset:19584                   // 000000005360: D8EC4C80 6E000038
	ds_read_b64 v[112:113], v56 offset:19712                   // 000000005368: D8EC4D00 70000038
	ds_read_b64 v[114:115], v56 offset:19840                   // 000000005370: D8EC4D80 72000038
	ds_read_b64 v[116:117], v56 offset:19968                   // 000000005378: D8EC4E00 74000038
	ds_read_b64 v[118:119], v56 offset:20096                   // 000000005380: D8EC4E80 76000038
	ds_read_b64 v[120:121], v56 offset:20224                   // 000000005388: D8EC4F00 78000038
	ds_read_b64 v[122:123], v56 offset:20352                   // 000000005390: D8EC4F80 7A000038
	ds_read_b64 v[124:125], v56 offset:20480                   // 000000005398: D8EC5000 7C000038
	ds_read_b64 v[126:127], v56 offset:20608                   // 0000000053A0: D8EC5080 7E000038
	s_waitcnt lgkmcnt(0)                                       // 0000000053A8: BF8CC07F
	v_max3_f32 v30, |v96|, |v98|, v30                          // 0000000053AC: D1D3031E 047AC560
	v_max3_f32 v31, |v97|, |v99|, v31                          // 0000000053B4: D1D3031F 047EC761
	v_max3_f32 v30, |v100|, |v102|, v30                        // 0000000053BC: D1D3031E 047ACD64
	v_max3_f32 v31, |v101|, |v103|, v31                        // 0000000053C4: D1D3031F 047ECF65
	v_max3_f32 v30, |v104|, |v106|, v30                        // 0000000053CC: D1D3031E 047AD568
	v_max3_f32 v31, |v105|, |v107|, v31                        // 0000000053D4: D1D3031F 047ED769
	v_max3_f32 v30, |v108|, |v110|, v30                        // 0000000053DC: D1D3031E 047ADD6C
	v_max3_f32 v31, |v109|, |v111|, v31                        // 0000000053E4: D1D3031F 047EDF6D
	v_max3_f32 v30, |v112|, |v114|, v30                        // 0000000053EC: D1D3031E 047AE570
	v_max3_f32 v31, |v113|, |v115|, v31                        // 0000000053F4: D1D3031F 047EE771
	v_max3_f32 v30, |v116|, |v118|, v30                        // 0000000053FC: D1D3031E 047AED74
	v_max3_f32 v31, |v117|, |v119|, v31                        // 000000005404: D1D3031F 047EEF75
	v_max3_f32 v30, |v120|, |v122|, v30                        // 00000000540C: D1D3031E 047AF578
	v_max3_f32 v31, |v121|, |v123|, v31                        // 000000005414: D1D3031F 047EF779
	v_max3_f32 v30, |v124|, |v126|, v30                        // 00000000541C: D1D3031E 047AFD7C
	v_max3_f32 v31, |v125|, |v127|, v31                        // 000000005424: D1D3031F 047EFF7D
	v_rcp_f32_e32 v30, v30                                     // 00000000542C: 7E3C451E
	v_rcp_f32_e32 v31, v31                                     // 000000005430: 7E3E451F
	v_mov_b32_e32 v56, 0x43700000                              // 000000005434: 7E7002FF 43700000
	v_mul_f32_e32 v30, v56, v30                                // 00000000543C: 0A3C3D38
	v_mul_f32_e32 v31, v56, v31                                // 000000005440: 0A3E3F38
	v_mul_f32_e32 v144, v30, v144                              // 000000005444: 0B21211E
	v_mul_f32_e32 v145, v30, v145                              // 000000005448: 0B23231E
	v_mul_f32_e32 v146, v30, v146                              // 00000000544C: 0B25251E
	v_mul_f32_e32 v147, v30, v147                              // 000000005450: 0B27271E
	v_cvt_pk_fp8_f32 v132, v144, v145                          // 000000005454: D2A20084 00032390
	v_cvt_pk_fp8_f32 v132, v146, v147 op_sel:[0,0,1]           // 00000000545C: D2A24084 00032792
	v_mul_f32_e32 v148, v31, v148                              // 000000005464: 0B29291F
	v_mul_f32_e32 v149, v31, v149                              // 000000005468: 0B2B2B1F
	v_mul_f32_e32 v150, v31, v150                              // 00000000546C: 0B2D2D1F
	v_mul_f32_e32 v151, v31, v151                              // 000000005470: 0B2F2F1F
	v_cvt_pk_fp8_f32 v133, v148, v149                          // 000000005474: D2A20085 00032B94
	v_cvt_pk_fp8_f32 v133, v150, v151 op_sel:[0,0,1]           // 00000000547C: D2A24085 00032F96
	v_mul_f32_e32 v152, v30, v152                              // 000000005484: 0B31311E
	v_mul_f32_e32 v153, v30, v153                              // 000000005488: 0B33331E
	v_mul_f32_e32 v154, v30, v154                              // 00000000548C: 0B35351E
	v_mul_f32_e32 v155, v30, v155                              // 000000005490: 0B37371E
	v_cvt_pk_fp8_f32 v134, v152, v153                          // 000000005494: D2A20086 00033398
	v_cvt_pk_fp8_f32 v134, v154, v155 op_sel:[0,0,1]           // 00000000549C: D2A24086 0003379A
	v_mul_f32_e32 v156, v31, v156                              // 0000000054A4: 0B39391F
	v_mul_f32_e32 v157, v31, v157                              // 0000000054A8: 0B3B3B1F
	v_mul_f32_e32 v158, v31, v158                              // 0000000054AC: 0B3D3D1F
	v_mul_f32_e32 v159, v31, v159                              // 0000000054B0: 0B3F3F1F
	v_cvt_pk_fp8_f32 v135, v156, v157                          // 0000000054B4: D2A20087 00033B9C
	v_cvt_pk_fp8_f32 v135, v158, v159 op_sel:[0,0,1]           // 0000000054BC: D2A24087 00033F9E
	v_rcp_f32_e32 v34, v30                                     // 0000000054C4: 7E44451E
	v_rcp_f32_e32 v35, v31                                     // 0000000054C8: 7E46451F
	v_lshrrev_b32_e32 v56, 5, v0                               // 0000000054CC: 20700085
	v_lshlrev_b32_e32 v57, 5, v56                              // 0000000054D0: 24727085
	v_and_b32_e32 v56, 31, v0                                  // 0000000054D4: 2670009F
	v_lshrrev_b32_e32 v58, 4, v56                              // 0000000054D8: 20747084
	v_add_u32_e32 v57, v58, v57                                // 0000000054DC: 6872733A
	v_and_b32_e32 v56, 15, v0                                  // 0000000054E0: 2670008F
	v_lshlrev_b32_e32 v56, 1, v56                              // 0000000054E4: 24707081
	v_add_u32_e32 v57, v56, v57                                // 0000000054E8: 68727338
	v_lshlrev_b32_e32 v56, 2, v57                              // 0000000054EC: 24707282
	s_mul_i32 s60, 0x100, s7                                   // 0000000054F0: 923C07FF 00000100
	v_add_u32_e64 v56, v56, s60                                // 0000000054F8: D1340038 00007938
	ds_write_b32 v56, v128 offset:20736                        // 000000005500: D81A5100 00008038
	ds_write_b32 v56, v129 offset:24832                        // 000000005508: D81A6100 00008138
	ds_write_b32 v56, v130 offset:21760                        // 000000005510: D81A5500 00008238
	ds_write_b32 v56, v131 offset:25856                        // 000000005518: D81A6500 00008338
	ds_write_b32 v56, v132 offset:22784                        // 000000005520: D81A5900 00008438
	ds_write_b32 v56, v133 offset:26880                        // 000000005528: D81A6900 00008538
	ds_write_b32 v56, v134 offset:23808                        // 000000005530: D81A5D00 00008638
	ds_write_b32 v56, v135 offset:27904                        // 000000005538: D81A6D00 00008738
	s_waitcnt lgkmcnt(0)                                       // 000000005540: BF8CC07F
	s_barrier                                                  // 000000005544: BF8A0000
	v_lshrrev_b32_e32 v56, 4, v0                               // 000000005548: 20700084
	v_lshlrev_b32_e32 v57, 6, v56                              // 00000000554C: 24727086
	v_and_b32_e32 v56, 15, v0                                  // 000000005550: 2670008F
	v_lshlrev_b32_e32 v56, 1, v56                              // 000000005554: 24707081
	v_add_u32_e32 v57, v56, v57                                // 000000005558: 68727338
	v_lshlrev_b32_e32 v56, 2, v57                              // 00000000555C: 24707282
	ds_read_b64 v[128:129], v56 offset:20736                   // 000000005560: D8EC5100 80000038
	ds_read_b64 v[130:131], v56 offset:20864                   // 000000005568: D8EC5180 82000038
	ds_read_b64 v[132:133], v56 offset:21760                   // 000000005570: D8EC5500 84000038
	ds_read_b64 v[134:135], v56 offset:21888                   // 000000005578: D8EC5580 86000038
	ds_read_b64 v[136:137], v56 offset:22784                   // 000000005580: D8EC5900 88000038
	ds_read_b64 v[138:139], v56 offset:22912                   // 000000005588: D8EC5980 8A000038
	ds_read_b64 v[140:141], v56 offset:23808                   // 000000005590: D8EC5D00 8C000038
	ds_read_b64 v[142:143], v56 offset:23936                   // 000000005598: D8EC5D80 8E000038
	ds_read_b64 v[144:145], v56 offset:24832                   // 0000000055A0: D8EC6100 90000038
	ds_read_b64 v[146:147], v56 offset:24960                   // 0000000055A8: D8EC6180 92000038
	ds_read_b64 v[148:149], v56 offset:25856                   // 0000000055B0: D8EC6500 94000038
	ds_read_b64 v[150:151], v56 offset:25984                   // 0000000055B8: D8EC6580 96000038
	ds_read_b64 v[152:153], v56 offset:26880                   // 0000000055C0: D8EC6900 98000038
	ds_read_b64 v[154:155], v56 offset:27008                   // 0000000055C8: D8EC6980 9A000038
	ds_read_b64 v[156:157], v56 offset:27904                   // 0000000055D0: D8EC6D00 9C000038
	ds_read_b64 v[158:159], v56 offset:28032                   // 0000000055D8: D8EC6D80 9E000038
	s_add_u32 s12, s56, s12                                    // 0000000055E0: 800C0C38
	s_addc_u32 s13, 0, s13                                     // 0000000055E4: 820D0D80
	s_add_u32 s16, s79, s16                                    // 0000000055E8: 8010104F
	s_addc_u32 s17, 0, s17                                     // 0000000055EC: 82111180
	s_waitcnt lgkmcnt(0)                                       // 0000000055F0: BF8CC07F
	s_barrier                                                  // 0000000055F4: BF8A0000
	v_mov_b32_e32 v192, 0                                      // 0000000055F8: 7F800280
	v_mov_b32_e32 v224, 0                                      // 0000000055FC: 7FC00280
	v_mov_b32_e32 v193, 0                                      // 000000005600: 7F820280
	v_mov_b32_e32 v225, 0                                      // 000000005604: 7FC20280
	v_mov_b32_e32 v194, 0                                      // 000000005608: 7F840280
	v_mov_b32_e32 v226, 0                                      // 00000000560C: 7FC40280
	v_mov_b32_e32 v195, 0                                      // 000000005610: 7F860280
	v_mov_b32_e32 v227, 0                                      // 000000005614: 7FC60280
	v_mov_b32_e32 v196, 0                                      // 000000005618: 7F880280
	v_mov_b32_e32 v228, 0                                      // 00000000561C: 7FC80280
	v_mov_b32_e32 v197, 0                                      // 000000005620: 7F8A0280
	v_mov_b32_e32 v229, 0                                      // 000000005624: 7FCA0280
	v_mov_b32_e32 v198, 0                                      // 000000005628: 7F8C0280
	v_mov_b32_e32 v230, 0                                      // 00000000562C: 7FCC0280
	v_mov_b32_e32 v199, 0                                      // 000000005630: 7F8E0280
	v_mov_b32_e32 v231, 0                                      // 000000005634: 7FCE0280
	v_mov_b32_e32 v200, 0                                      // 000000005638: 7F900280
	v_mov_b32_e32 v232, 0                                      // 00000000563C: 7FD00280
	v_mov_b32_e32 v201, 0                                      // 000000005640: 7F920280
	v_mov_b32_e32 v233, 0                                      // 000000005644: 7FD20280
	v_mov_b32_e32 v202, 0                                      // 000000005648: 7F940280
	v_mov_b32_e32 v234, 0                                      // 00000000564C: 7FD40280
	v_mov_b32_e32 v203, 0                                      // 000000005650: 7F960280
	v_mov_b32_e32 v235, 0                                      // 000000005654: 7FD60280
	v_mov_b32_e32 v204, 0                                      // 000000005658: 7F980280
	v_mov_b32_e32 v236, 0                                      // 00000000565C: 7FD80280
	v_mov_b32_e32 v205, 0                                      // 000000005660: 7F9A0280
	v_mov_b32_e32 v237, 0                                      // 000000005664: 7FDA0280
	v_mov_b32_e32 v206, 0                                      // 000000005668: 7F9C0280
	v_mov_b32_e32 v238, 0                                      // 00000000566C: 7FDC0280
	v_mov_b32_e32 v207, 0                                      // 000000005670: 7F9E0280
	v_mov_b32_e32 v239, 0                                      // 000000005674: 7FDE0280
	ds_write_b64 v4, v[192:193] offset:20736                   // 000000005678: D89A5100 0000C004
	ds_write_b64 v4, v[194:195] offset:29440                   // 000000005680: D89A7300 0000C204
	ds_write_b64 v4, v[196:197] offset:22912                   // 000000005688: D89A5980 0000C404
	ds_write_b64 v4, v[198:199] offset:31616                   // 000000005690: D89A7B80 0000C604
	ds_write_b64 v4, v[200:201] offset:25088                   // 000000005698: D89A6200 0000C804
	ds_write_b64 v4, v[202:203] offset:33792                   // 0000000056A0: D89A8400 0000CA04
	ds_write_b64 v4, v[204:205] offset:27264                   // 0000000056A8: D89A6A80 0000CC04
	ds_write_b64 v4, v[206:207] offset:35968                   // 0000000056B0: D89A8C80 0000CE04
	s_mov_b32 s80, 0                                           // 0000000056B8: BED00080
	s_waitcnt vmcnt(0) expcnt(0) lgkmcnt(0)                    // 0000000056BC: BF8C0000

00000000000056c0 <label_0A30>:
	s_waitcnt vmcnt(12) lgkmcnt(0)                             // 0000000056C0: BF8C007C
	s_barrier                                                  // 0000000056C4: BF8A0000
	v_mfma_f32_16x16x32_fp8_fp8 v[192:195], a[0:1], v[128:129], 0// 0000000056C8: D3F300C0 0A030100
	ds_read_b32 v64, v5 offset:20736                           // 0000000056D0: D86C5100 40000005
	ds_read_b32 v65, v5 offset:25088                           // 0000000056D8: D86C6200 41000005
	v_mfma_f32_16x16x32_fp8_fp8 v[192:195], a[2:3], v[130:131], v[192:195]// 0000000056E0: D3F300C0 0F030502
	buffer_load_dwordx4 a[64:67], v48, s[12:15], 0 offen       // 0000000056E8: E05C1000 80834030
	v_mfma_f32_16x16x32_fp8_fp8 v[196:199], a[0:1], v[144:145], 0// 0000000056F0: D3F300C4 0A032100
	ds_read_b32 v66, v5 offset:20768                           // 0000000056F8: D86C5120 42000005
	ds_read_b32 v67, v5 offset:25120                           // 000000005700: D86C6220 43000005
	v_mfma_f32_16x16x32_fp8_fp8 v[196:199], a[2:3], v[146:147], v[196:199]// 000000005708: D3F300C4 0F132502
	buffer_load_dword v24, v6, s[16:19], 0 offen               // 000000005710: E0501000 80041806
	v_mfma_f32_16x16x32_fp8_fp8 v[200:203], a[4:5], v[128:129], 0// 000000005718: D3F300C8 0A030104
	ds_read_b32 v68, v5 offset:20800                           // 000000005720: D86C5140 44000005
	ds_read_b32 v69, v5 offset:25152                           // 000000005728: D86C6240 45000005
	v_mfma_f32_16x16x32_fp8_fp8 v[200:203], a[6:7], v[130:131], v[200:203]// 000000005730: D3F300C8 0F230506
	buffer_load_dwordx4 a[68:71], v49, s[12:15], 0 offen       // 000000005738: E05C1000 80834431
	v_mfma_f32_16x16x32_fp8_fp8 v[204:207], a[4:5], v[144:145], 0// 000000005740: D3F300CC 0A032104
	ds_read_b32 v70, v5 offset:20832                           // 000000005748: D86C5160 46000005
	ds_read_b32 v71, v5 offset:25184                           // 000000005750: D86C6260 47000005
	v_mfma_f32_16x16x32_fp8_fp8 v[204:207], a[6:7], v[146:147], v[204:207]// 000000005758: D3F300CC 0F332506
	v_mfma_f32_16x16x32_fp8_fp8 v[208:211], a[8:9], v[128:129], 0// 000000005760: D3F300D0 0A030108
	ds_read_b32 v72, v5 offset:29440                           // 000000005768: D86C7300 48000005
	ds_read_b32 v73, v5 offset:33792                           // 000000005770: D86C8400 49000005
	v_mfma_f32_16x16x32_fp8_fp8 v[208:211], a[10:11], v[130:131], v[208:211]// 000000005778: D3F300D0 0F43050A
	buffer_load_dwordx4 a[72:75], v50, s[12:15], 0 offen       // 000000005780: E05C1000 80834832
	v_mfma_f32_16x16x32_fp8_fp8 v[212:215], a[8:9], v[144:145], 0// 000000005788: D3F300D4 0A032108
	ds_read_b32 v74, v5 offset:29472                           // 000000005790: D86C7320 4A000005
	ds_read_b32 v75, v5 offset:33824                           // 000000005798: D86C8420 4B000005
	v_mfma_f32_16x16x32_fp8_fp8 v[212:215], a[10:11], v[146:147], v[212:215]// 0000000057A0: D3F300D4 0F53250A
	v_mfma_f32_16x16x32_fp8_fp8 v[216:219], a[12:13], v[128:129], 0// 0000000057A8: D3F300D8 0A03010C
	ds_read_b32 v76, v5 offset:29504                           // 0000000057B0: D86C7340 4C000005
	ds_read_b32 v77, v5 offset:33856                           // 0000000057B8: D86C8440 4D000005
	v_mfma_f32_16x16x32_fp8_fp8 v[216:219], a[14:15], v[130:131], v[216:219]// 0000000057C0: D3F300D8 0F63050E
	buffer_load_dwordx4 a[76:79], v51, s[12:15], 0 offen       // 0000000057C8: E05C1000 80834C33
	s_add_u32 s12, s78, s12                                    // 0000000057D0: 800C0C4E
	s_addc_u32 s13, 0, s13                                     // 0000000057D4: 820D0D80
	v_mfma_f32_16x16x32_fp8_fp8 v[220:223], a[12:13], v[144:145], 0// 0000000057D8: D3F300DC 0A03210C
	ds_read_b32 v78, v5 offset:29536                           // 0000000057E0: D86C7360 4E000005
	ds_read_b32 v79, v5 offset:33888                           // 0000000057E8: D86C8460 4F000005
	v_mfma_f32_16x16x32_fp8_fp8 v[220:223], a[14:15], v[146:147], v[220:223]// 0000000057F0: D3F300DC 0F73250E
	s_waitcnt vmcnt(13)                                        // 0000000057F8: BF8C0F7D
	v_mfma_f32_16x16x32_fp8_fp8 v[192:195], a[16:17], v[132:133], v[192:195]// 0000000057FC: D3F300C0 0F030910
	v_mfma_f32_16x16x32_fp8_fp8 v[192:195], a[18:19], v[134:135], v[192:195]// 000000005804: D3F300C0 0F030D12
	buffer_load_dwordx4 a[80:83], v48, s[12:15], 0 offen       // 00000000580C: E05C1000 80835030
	v_mfma_f32_16x16x32_fp8_fp8 v[196:199], a[16:17], v[148:149], v[196:199]// 000000005814: D3F300C4 0F132910
	v_mfma_f32_16x16x32_fp8_fp8 v[196:199], a[18:19], v[150:151], v[196:199]// 00000000581C: D3F300C4 0F132D12
	v_mfma_f32_16x16x32_fp8_fp8 v[200:203], a[20:21], v[132:133], v[200:203]// 000000005824: D3F300C8 0F230914
	v_mfma_f32_16x16x32_fp8_fp8 v[200:203], a[22:23], v[134:135], v[200:203]// 00000000582C: D3F300C8 0F230D16
	buffer_load_dwordx4 a[84:87], v49, s[12:15], 0 offen       // 000000005834: E05C1000 80835431
	v_mfma_f32_16x16x32_fp8_fp8 v[204:207], a[20:21], v[148:149], v[204:207]// 00000000583C: D3F300CC 0F332914
	v_mfma_f32_16x16x32_fp8_fp8 v[204:207], a[22:23], v[150:151], v[204:207]// 000000005844: D3F300CC 0F332D16
	v_mfma_f32_16x16x32_fp8_fp8 v[208:211], a[24:25], v[132:133], v[208:211]// 00000000584C: D3F300D0 0F430918
	v_mfma_f32_16x16x32_fp8_fp8 v[208:211], a[26:27], v[134:135], v[208:211]// 000000005854: D3F300D0 0F430D1A
	buffer_load_dwordx4 a[88:91], v50, s[12:15], 0 offen       // 00000000585C: E05C1000 80835832
	v_mfma_f32_16x16x32_fp8_fp8 v[212:215], a[24:25], v[148:149], v[212:215]// 000000005864: D3F300D4 0F532918
	v_mfma_f32_16x16x32_fp8_fp8 v[212:215], a[26:27], v[150:151], v[212:215]// 00000000586C: D3F300D4 0F532D1A
	v_mfma_f32_16x16x32_fp8_fp8 v[216:219], a[28:29], v[132:133], v[216:219]// 000000005874: D3F300D8 0F63091C
	v_mfma_f32_16x16x32_fp8_fp8 v[216:219], a[30:31], v[134:135], v[216:219]// 00000000587C: D3F300D8 0F630D1E
	buffer_load_dwordx4 a[92:95], v51, s[12:15], 0 offen       // 000000005884: E05C1000 80835C33
	s_add_u32 s12, s78, s12                                    // 00000000588C: 800C0C4E
	s_addc_u32 s13, 0, s13                                     // 000000005890: 820D0D80
	v_mfma_f32_16x16x32_fp8_fp8 v[220:223], a[28:29], v[148:149], v[220:223]// 000000005894: D3F300DC 0F73291C
	v_mfma_f32_16x16x32_fp8_fp8 v[220:223], a[30:31], v[150:151], v[220:223]// 00000000589C: D3F300DC 0F732D1E
	v_mul_f32_dpp v56, v23, v32 row_newbcast:0 row_mask:0xf bank_mask:0xf// 0000000058A4: 0A7040FA FF015017
	v_mov_b32_e32 v57, v56                                     // 0000000058AC: 7E720338
	v_pk_mul_f32 v[192:193], v[56:57], v[192:193]              // 0000000058B0: D3B140C0 18038138
	v_pk_mul_f32 v[194:195], v[56:57], v[194:195]              // 0000000058B8: D3B140C2 18038538
	v_pk_mul_f32 v[200:201], v[56:57], v[200:201]              // 0000000058C0: D3B140C8 18039138
	v_pk_mul_f32 v[202:203], v[56:57], v[202:203]              // 0000000058C8: D3B140CA 18039538
	v_mul_f32_dpp v56, v23, v32 row_newbcast:1 row_mask:0xf bank_mask:0xf// 0000000058D0: 0A7040FA FF015117
	v_mov_b32_e32 v57, v56                                     // 0000000058D8: 7E720338
	v_pk_mul_f32 v[208:209], v[56:57], v[208:209]              // 0000000058DC: D3B140D0 1803A138
	v_pk_mul_f32 v[210:211], v[56:57], v[210:211]              // 0000000058E4: D3B140D2 1803A538
	v_pk_mul_f32 v[216:217], v[56:57], v[216:217]              // 0000000058EC: D3B140D8 1803B138
	v_pk_mul_f32 v[218:219], v[56:57], v[218:219]              // 0000000058F4: D3B140DA 1803B538
	v_mul_f32_dpp v56, v23, v33 row_newbcast:0 row_mask:0xf bank_mask:0xf// 0000000058FC: 0A7042FA FF015017
	v_mov_b32_e32 v57, v56                                     // 000000005904: 7E720338
	v_pk_mul_f32 v[196:197], v[56:57], v[196:197]              // 000000005908: D3B140C4 18038938
	v_pk_mul_f32 v[198:199], v[56:57], v[198:199]              // 000000005910: D3B140C6 18038D38
	v_pk_mul_f32 v[204:205], v[56:57], v[204:205]              // 000000005918: D3B140CC 18039938
	v_pk_mul_f32 v[206:207], v[56:57], v[206:207]              // 000000005920: D3B140CE 18039D38
	v_mul_f32_dpp v56, v23, v33 row_newbcast:1 row_mask:0xf bank_mask:0xf// 000000005928: 0A7042FA FF015117
	v_mov_b32_e32 v57, v56                                     // 000000005930: 7E720338
	v_pk_mul_f32 v[212:213], v[56:57], v[212:213]              // 000000005934: D3B140D4 1803A938
	v_pk_mul_f32 v[214:215], v[56:57], v[214:215]              // 00000000593C: D3B140D6 1803AD38
	v_pk_mul_f32 v[220:221], v[56:57], v[220:221]              // 000000005944: D3B140DC 1803B938
	v_pk_mul_f32 v[222:223], v[56:57], v[222:223]              // 00000000594C: D3B140DE 1803BD38
	s_waitcnt vmcnt(13)                                        // 000000005954: BF8C0F7D
	v_mfma_f32_16x16x32_fp8_fp8 v[160:163], a[32:33], v[136:137], 0// 000000005958: D3F300A0 0A031120
	ds_write_b64 v4, v[224:225] offset:38144                   // 000000005960: D89A9500 0000E004
	v_mfma_f32_16x16x32_fp8_fp8 v[160:163], a[34:35], v[138:139], v[160:163]// 000000005968: D3F300A0 0E831522
	buffer_load_dwordx4 a[96:99], v48, s[12:15], 0 offen       // 000000005970: E05C1000 80836030
	v_mfma_f32_16x16x32_fp8_fp8 v[164:167], a[32:33], v[152:153], 0// 000000005978: D3F300A4 0A033120
	ds_write_b64 v4, v[226:227] offset:46848                   // 000000005980: D89AB700 0000E204
	v_mfma_f32_16x16x32_fp8_fp8 v[164:167], a[34:35], v[154:155], v[164:167]// 000000005988: D3F300A4 0E933522
	v_mfma_f32_16x16x32_fp8_fp8 v[168:171], a[36:37], v[136:137], 0// 000000005990: D3F300A8 0A031124
	ds_write_b64 v4, v[228:229] offset:40320                   // 000000005998: D89A9D80 0000E404
	v_mfma_f32_16x16x32_fp8_fp8 v[168:171], a[38:39], v[138:139], v[168:171]// 0000000059A0: D3F300A8 0EA31526
	buffer_load_dwordx4 a[100:103], v49, s[12:15], 0 offen     // 0000000059A8: E05C1000 80836431
	v_mfma_f32_16x16x32_fp8_fp8 v[172:175], a[36:37], v[152:153], 0// 0000000059B0: D3F300AC 0A033124
	ds_write_b64 v4, v[230:231] offset:49024                   // 0000000059B8: D89ABF80 0000E604
	v_mfma_f32_16x16x32_fp8_fp8 v[172:175], a[38:39], v[154:155], v[172:175]// 0000000059C0: D3F300AC 0EB33526
	v_mfma_f32_16x16x32_fp8_fp8 v[176:179], a[40:41], v[136:137], 0// 0000000059C8: D3F300B0 0A031128
	ds_write_b64 v4, v[232:233] offset:42496                   // 0000000059D0: D89AA600 0000E804
	v_mfma_f32_16x16x32_fp8_fp8 v[176:179], a[42:43], v[138:139], v[176:179]// 0000000059D8: D3F300B0 0EC3152A
	buffer_load_dwordx4 a[104:107], v50, s[12:15], 0 offen     // 0000000059E0: E05C1000 80836832
	v_mfma_f32_16x16x32_fp8_fp8 v[180:183], a[40:41], v[152:153], 0// 0000000059E8: D3F300B4 0A033128
	ds_write_b64 v4, v[234:235] offset:51200                   // 0000000059F0: D89AC800 0000EA04
	v_mfma_f32_16x16x32_fp8_fp8 v[180:183], a[42:43], v[154:155], v[180:183]// 0000000059F8: D3F300B4 0ED3352A
	v_mfma_f32_16x16x32_fp8_fp8 v[184:187], a[44:45], v[136:137], 0// 000000005A00: D3F300B8 0A03112C
	ds_write_b64 v4, v[236:237] offset:44672                   // 000000005A08: D89AAE80 0000EC04
	v_mfma_f32_16x16x32_fp8_fp8 v[184:187], a[46:47], v[138:139], v[184:187]// 000000005A10: D3F300B8 0EE3152E
	buffer_load_dwordx4 a[108:111], v51, s[12:15], 0 offen     // 000000005A18: E05C1000 80836C33
	s_add_u32 s12, s78, s12                                    // 000000005A20: 800C0C4E
	s_addc_u32 s13, 0, s13                                     // 000000005A24: 820D0D80
	v_mfma_f32_16x16x32_fp8_fp8 v[188:191], a[44:45], v[152:153], 0// 000000005A28: D3F300BC 0A03312C
	ds_write_b64 v4, v[238:239] offset:53376                   // 000000005A30: D89AD080 0000EE04
	v_mfma_f32_16x16x32_fp8_fp8 v[188:191], a[46:47], v[154:155], v[188:191]// 000000005A38: D3F300BC 0EF3352E
	s_waitcnt vmcnt(13)                                        // 000000005A40: BF8C0F7D
	v_mfma_f32_16x16x32_fp8_fp8 v[160:163], a[48:49], v[140:141], v[160:163]// 000000005A44: D3F300A0 0E831930
	v_mfma_f32_16x16x32_fp8_fp8 v[160:163], a[50:51], v[142:143], v[160:163]// 000000005A4C: D3F300A0 0E831D32
	buffer_load_dwordx4 a[112:115], v48, s[12:15], 0 offen     // 000000005A54: E05C1000 80837030
	v_mfma_f32_16x16x32_fp8_fp8 v[164:167], a[48:49], v[156:157], v[164:167]// 000000005A5C: D3F300A4 0E933930
	v_mfma_f32_16x16x32_fp8_fp8 v[164:167], a[50:51], v[158:159], v[164:167]// 000000005A64: D3F300A4 0E933D32
	v_mfma_f32_16x16x32_fp8_fp8 v[168:171], a[52:53], v[140:141], v[168:171]// 000000005A6C: D3F300A8 0EA31934
	v_mfma_f32_16x16x32_fp8_fp8 v[168:171], a[54:55], v[142:143], v[168:171]// 000000005A74: D3F300A8 0EA31D36
	buffer_load_dwordx4 a[116:119], v49, s[12:15], 0 offen     // 000000005A7C: E05C1000 80837431
	v_mfma_f32_16x16x32_fp8_fp8 v[172:175], a[52:53], v[156:157], v[172:175]// 000000005A84: D3F300AC 0EB33934
	v_mfma_f32_16x16x32_fp8_fp8 v[172:175], a[54:55], v[158:159], v[172:175]// 000000005A8C: D3F300AC 0EB33D36
	v_mfma_f32_16x16x32_fp8_fp8 v[176:179], a[56:57], v[140:141], v[176:179]// 000000005A94: D3F300B0 0EC31938
	v_mfma_f32_16x16x32_fp8_fp8 v[176:179], a[58:59], v[142:143], v[176:179]// 000000005A9C: D3F300B0 0EC31D3A
	buffer_load_dwordx4 a[120:123], v50, s[12:15], 0 offen     // 000000005AA4: E05C1000 80837832
	v_mfma_f32_16x16x32_fp8_fp8 v[180:183], a[56:57], v[156:157], v[180:183]// 000000005AAC: D3F300B4 0ED33938
	v_mfma_f32_16x16x32_fp8_fp8 v[180:183], a[58:59], v[158:159], v[180:183]// 000000005AB4: D3F300B4 0ED33D3A
	v_mfma_f32_16x16x32_fp8_fp8 v[184:187], a[60:61], v[140:141], v[184:187]// 000000005ABC: D3F300B8 0EE3193C
	v_mfma_f32_16x16x32_fp8_fp8 v[184:187], a[62:63], v[142:143], v[184:187]// 000000005AC4: D3F300B8 0EE31D3E
	buffer_load_dwordx4 a[124:127], v51, s[12:15], 0 offen     // 000000005ACC: E05C1000 80837C33
	v_mfma_f32_16x16x32_fp8_fp8 v[188:191], a[60:61], v[156:157], v[188:191]// 000000005AD4: D3F300BC 0EF3393C
	v_mfma_f32_16x16x32_fp8_fp8 v[188:191], a[62:63], v[158:159], v[188:191]// 000000005ADC: D3F300BC 0EF33D3E
	v_mul_f32_dpp v56, v23, v34 row_newbcast:2 row_mask:0xf bank_mask:0xf// 000000005AE4: 0A7044FA FF015217
	v_mov_b32_e32 v57, v56                                     // 000000005AEC: 7E720338
	v_pk_fma_f32 v[192:193], v[160:161], v[56:57], v[192:193]  // 000000005AF0: D3B040C0 1F0271A0
	v_pk_fma_f32 v[194:195], v[162:163], v[56:57], v[194:195]  // 000000005AF8: D3B040C2 1F0A71A2
	v_pk_fma_f32 v[200:201], v[168:169], v[56:57], v[200:201]  // 000000005B00: D3B040C8 1F2271A8
	v_pk_fma_f32 v[202:203], v[170:171], v[56:57], v[202:203]  // 000000005B08: D3B040CA 1F2A71AA
	v_mul_f32_dpp v56, v23, v34 row_newbcast:3 row_mask:0xf bank_mask:0xf// 000000005B10: 0A7044FA FF015317
	v_mov_b32_e32 v57, v56                                     // 000000005B18: 7E720338
	v_pk_fma_f32 v[208:209], v[176:177], v[56:57], v[208:209]  // 000000005B1C: D3B040D0 1F4271B0
	v_pk_fma_f32 v[210:211], v[178:179], v[56:57], v[210:211]  // 000000005B24: D3B040D2 1F4A71B2
	v_pk_fma_f32 v[216:217], v[184:185], v[56:57], v[216:217]  // 000000005B2C: D3B040D8 1F6271B8
	v_pk_fma_f32 v[218:219], v[186:187], v[56:57], v[218:219]  // 000000005B34: D3B040DA 1F6A71BA
	v_mul_f32_dpp v56, v23, v35 row_newbcast:2 row_mask:0xf bank_mask:0xf// 000000005B3C: 0A7046FA FF015217
	v_mov_b32_e32 v57, v56                                     // 000000005B44: 7E720338
	v_pk_fma_f32 v[196:197], v[164:165], v[56:57], v[196:197]  // 000000005B48: D3B040C4 1F1271A4
	v_pk_fma_f32 v[198:199], v[166:167], v[56:57], v[198:199]  // 000000005B50: D3B040C6 1F1A71A6
	v_pk_fma_f32 v[204:205], v[172:173], v[56:57], v[204:205]  // 000000005B58: D3B040CC 1F3271AC
	v_pk_fma_f32 v[206:207], v[174:175], v[56:57], v[206:207]  // 000000005B60: D3B040CE 1F3A71AE
	v_mul_f32_dpp v56, v23, v35 row_newbcast:3 row_mask:0xf bank_mask:0xf// 000000005B68: 0A7046FA FF015317
	v_mov_b32_e32 v57, v56                                     // 000000005B70: 7E720338
	v_pk_fma_f32 v[212:213], v[180:181], v[56:57], v[212:213]  // 000000005B74: D3B040D4 1F5271B4
	v_pk_fma_f32 v[214:215], v[182:183], v[56:57], v[214:215]  // 000000005B7C: D3B040D6 1F5A71B6
	v_pk_fma_f32 v[220:221], v[188:189], v[56:57], v[220:221]  // 000000005B84: D3B040DC 1F7271BC
	v_pk_fma_f32 v[222:223], v[190:191], v[56:57], v[222:223]  // 000000005B8C: D3B040DE 1F7A71BE
	s_add_u32 s60, 0x200, s80                                  // 000000005B94: 803C50FF 00000200
	s_cmp_lt_u32 s60, s81                                      // 000000005B9C: BF0A513C
	s_cselect_b32 s56, s56, 0                                  // 000000005BA0: 85388038
	s_cselect_b32 s78, s78, 0                                  // 000000005BA4: 854E804E
	s_cselect_b32 s79, s79, 0                                  // 000000005BA8: 854F804F
	s_add_u32 s12, s56, s12                                    // 000000005BAC: 800C0C38
	s_addc_u32 s13, 0, s13                                     // 000000005BB0: 820D0D80
	s_add_u32 s16, s79, s16                                    // 000000005BB4: 8010104F
	s_addc_u32 s17, 0, s17                                     // 000000005BB8: 82111180
	v_mov_b32_e32 v56, v25                                     // 000000005BBC: 7E700319
	v_mov_b32_e32 v57, v25                                     // 000000005BC0: 7E720319
	v_pk_mul_f32 v[192:193], v[56:57], v[192:193]              // 000000005BC4: D3B140C0 18038138
	v_pk_mul_f32 v[194:195], v[56:57], v[194:195]              // 000000005BCC: D3B140C2 18038538
	v_pk_mul_f32 v[200:201], v[56:57], v[200:201]              // 000000005BD4: D3B140C8 18039138
	v_pk_mul_f32 v[202:203], v[56:57], v[202:203]              // 000000005BDC: D3B140CA 18039538
	v_pk_mul_f32 v[208:209], v[56:57], v[208:209]              // 000000005BE4: D3B140D0 1803A138
	v_pk_mul_f32 v[210:211], v[56:57], v[210:211]              // 000000005BEC: D3B140D2 1803A538
	v_pk_mul_f32 v[216:217], v[56:57], v[216:217]              // 000000005BF4: D3B140D8 1803B138
	v_pk_mul_f32 v[218:219], v[56:57], v[218:219]              // 000000005BFC: D3B140DA 1803B538
	v_mov_b32_e32 v56, v26                                     // 000000005C04: 7E70031A
	v_mov_b32_e32 v57, v26                                     // 000000005C08: 7E72031A
	v_pk_mul_f32 v[196:197], v[56:57], v[196:197]              // 000000005C0C: D3B140C4 18038938
	v_pk_mul_f32 v[198:199], v[56:57], v[198:199]              // 000000005C14: D3B140C6 18038D38
	v_pk_mul_f32 v[204:205], v[56:57], v[204:205]              // 000000005C1C: D3B140CC 18039938
	v_pk_mul_f32 v[206:207], v[56:57], v[206:207]              // 000000005C24: D3B140CE 18039D38
	v_pk_mul_f32 v[212:213], v[56:57], v[212:213]              // 000000005C2C: D3B140D4 1803A938
	v_pk_mul_f32 v[214:215], v[56:57], v[214:215]              // 000000005C34: D3B140D6 1803AD38
	v_pk_mul_f32 v[220:221], v[56:57], v[220:221]              // 000000005C3C: D3B140DC 1803B938
	v_pk_mul_f32 v[222:223], v[56:57], v[222:223]              // 000000005C44: D3B140DE 1803BD38
	v_cvt_pkrtz_f16_f32 v192, v192, v193                       // 000000005C4C: D29600C0 000383C0
	v_cvt_pkrtz_f16_f32 v193, v194, v195                       // 000000005C54: D29600C1 000387C2
	v_cvt_pkrtz_f16_f32 v194, v196, v197                       // 000000005C5C: D29600C2 00038BC4
	v_cvt_pkrtz_f16_f32 v195, v198, v199                       // 000000005C64: D29600C3 00038FC6
	v_cvt_pkrtz_f16_f32 v196, v200, v201                       // 000000005C6C: D29600C4 000393C8
	v_cvt_pkrtz_f16_f32 v197, v202, v203                       // 000000005C74: D29600C5 000397CA
	v_cvt_pkrtz_f16_f32 v198, v204, v205                       // 000000005C7C: D29600C6 00039BCC
	v_cvt_pkrtz_f16_f32 v199, v206, v207                       // 000000005C84: D29600C7 00039FCE
	v_cvt_pkrtz_f16_f32 v200, v208, v209                       // 000000005C8C: D29600C8 0003A3D0
	v_cvt_pkrtz_f16_f32 v201, v210, v211                       // 000000005C94: D29600C9 0003A7D2
	v_cvt_pkrtz_f16_f32 v202, v212, v213                       // 000000005C9C: D29600CA 0003ABD4
	v_cvt_pkrtz_f16_f32 v203, v214, v215                       // 000000005CA4: D29600CB 0003AFD6
	v_cvt_pkrtz_f16_f32 v204, v216, v217                       // 000000005CAC: D29600CC 0003B3D8
	v_cvt_pkrtz_f16_f32 v205, v218, v219                       // 000000005CB4: D29600CD 0003B7DA
	v_cvt_pkrtz_f16_f32 v206, v220, v221                       // 000000005CBC: D29600CE 0003BBDC
	v_cvt_pkrtz_f16_f32 v207, v222, v223                       // 000000005CC4: D29600CF 0003BFDE
	s_cmp_ge_u32 s80, 0x200                                    // 000000005CCC: BF09FF50 00000200
	s_cselect_b32 s59, 0x200, s59                              // 000000005CD4: 853B3BFF 00000200
	s_setvskip s20, 0                                          // 000000005CDC: BF108014
	global_atomic_pk_add_f16 v80, v64, s[8:9]                  // 000000005CE0: DD388000 00084050
	s_setvskip 0, 0                                            // 000000005CE8: BF108080
	s_setvskip s20, 0                                          // 000000005CEC: BF108014
	global_atomic_pk_add_f16 v80, v65, s[8:9] offset:256       // 000000005CF0: DD388100 00084150
	s_setvskip 0, 0                                            // 000000005CF8: BF108080
	s_setvskip s20, 1                                          // 000000005CFC: BF108114
	global_atomic_pk_add_f16 v82, v66, s[8:9]                  // 000000005D00: DD388000 00084252
	s_setvskip 0, 0                                            // 000000005D08: BF108080
	s_setvskip s20, 1                                          // 000000005D0C: BF108114
	global_atomic_pk_add_f16 v82, v67, s[8:9] offset:256       // 000000005D10: DD388100 00084352
	s_setvskip 0, 0                                            // 000000005D18: BF108080
	s_setvskip s20, 2                                          // 000000005D1C: BF108214
	global_atomic_pk_add_f16 v84, v68, s[8:9]                  // 000000005D20: DD388000 00084454
	s_setvskip 0, 0                                            // 000000005D28: BF108080
	s_setvskip s20, 2                                          // 000000005D2C: BF108214
	global_atomic_pk_add_f16 v84, v69, s[8:9] offset:256       // 000000005D30: DD388100 00084554
	s_setvskip 0, 0                                            // 000000005D38: BF108080
	s_setvskip s20, 3                                          // 000000005D3C: BF108314
	global_atomic_pk_add_f16 v86, v70, s[8:9]                  // 000000005D40: DD388000 00084656
	s_setvskip 0, 0                                            // 000000005D48: BF108080
	s_setvskip s20, 3                                          // 000000005D4C: BF108314
	global_atomic_pk_add_f16 v86, v71, s[8:9] offset:256       // 000000005D50: DD388100 00084756
	s_setvskip 0, 0                                            // 000000005D58: BF108080
	s_setvskip s20, 4                                          // 000000005D5C: BF108414
	global_atomic_pk_add_f16 v88, v72, s[8:9]                  // 000000005D60: DD388000 00084858
	s_setvskip 0, 0                                            // 000000005D68: BF108080
	s_setvskip s20, 4                                          // 000000005D6C: BF108414
	global_atomic_pk_add_f16 v88, v73, s[8:9] offset:256       // 000000005D70: DD388100 00084958
	s_setvskip 0, 0                                            // 000000005D78: BF108080
	s_setvskip s20, 5                                          // 000000005D7C: BF108514
	global_atomic_pk_add_f16 v90, v74, s[8:9]                  // 000000005D80: DD388000 00084A5A
	s_setvskip 0, 0                                            // 000000005D88: BF108080
	s_setvskip s20, 5                                          // 000000005D8C: BF108514
	global_atomic_pk_add_f16 v90, v75, s[8:9] offset:256       // 000000005D90: DD388100 00084B5A
	s_setvskip 0, 0                                            // 000000005D98: BF108080
	s_setvskip s20, 6                                          // 000000005D9C: BF108614
	global_atomic_pk_add_f16 v92, v76, s[8:9]                  // 000000005DA0: DD388000 00084C5C
	s_setvskip 0, 0                                            // 000000005DA8: BF108080
	s_setvskip s20, 6                                          // 000000005DAC: BF108614
	global_atomic_pk_add_f16 v92, v77, s[8:9] offset:256       // 000000005DB0: DD388100 00084D5C
	s_setvskip 0, 0                                            // 000000005DB8: BF108080
	s_setvskip s20, 7                                          // 000000005DBC: BF108714
	global_atomic_pk_add_f16 v94, v78, s[8:9]                  // 000000005DC0: DD388000 00084E5E
	s_setvskip 0, 0                                            // 000000005DC8: BF108080
	s_setvskip s20, 7                                          // 000000005DCC: BF108714
	global_atomic_pk_add_f16 v94, v79, s[8:9] offset:256       // 000000005DD0: DD388100 00084F5E
	s_setvskip 0, 0                                            // 000000005DD8: BF108080
	s_add_u32 s8, s59, s8                                      // 000000005DDC: 8008083B
	s_addc_u32 s9, 0, s9                                       // 000000005DE0: 82090980
	s_addk_i32 s80, 0x100                                      // 000000005DE4: B7500100
	s_cmp_lt_i32 s80, s81                                      // 000000005DE8: BF045150
	s_cbranch_scc0 label_0DC9                                  // 000000005DEC: BF8401CD
	s_waitcnt vmcnt(12) lgkmcnt(0)                             // 000000005DF0: BF8C007C
	s_barrier                                                  // 000000005DF4: BF8A0000
	v_mfma_f32_16x16x32_fp8_fp8 v[224:227], a[64:65], v[128:129], 0// 000000005DF8: D3F300E0 0A030140
	ds_read_b32 v64, v5 offset:38144                           // 000000005E00: D86C9500 40000005
	ds_read_b32 v65, v5 offset:42496                           // 000000005E08: D86CA600 41000005
	v_mfma_f32_16x16x32_fp8_fp8 v[224:227], a[66:67], v[130:131], v[224:227]// 000000005E10: D3F300E0 0F830542
	buffer_load_dwordx4 a[0:3], v48, s[12:15], 0 offen         // 000000005E18: E05C1000 80830030
	v_mfma_f32_16x16x32_fp8_fp8 v[228:231], a[64:65], v[144:145], 0// 000000005E20: D3F300E4 0A032140
	ds_read_b32 v66, v5 offset:38176                           // 000000005E28: D86C9520 42000005
	ds_read_b32 v67, v5 offset:42528                           // 000000005E30: D86CA620 43000005
	v_mfma_f32_16x16x32_fp8_fp8 v[228:231], a[66:67], v[146:147], v[228:231]// 000000005E38: D3F300E4 0F932542
	buffer_load_dword v23, v6, s[16:19], 0 offen               // 000000005E40: E0501000 80041706
	v_mfma_f32_16x16x32_fp8_fp8 v[232:235], a[68:69], v[128:129], 0// 000000005E48: D3F300E8 0A030144
	ds_read_b32 v68, v5 offset:38208                           // 000000005E50: D86C9540 44000005
	ds_read_b32 v69, v5 offset:42560                           // 000000005E58: D86CA640 45000005
	v_mfma_f32_16x16x32_fp8_fp8 v[232:235], a[70:71], v[130:131], v[232:235]// 000000005E60: D3F300E8 0FA30546
	buffer_load_dwordx4 a[4:7], v49, s[12:15], 0 offen         // 000000005E68: E05C1000 80830431
	v_mfma_f32_16x16x32_fp8_fp8 v[236:239], a[68:69], v[144:145], 0// 000000005E70: D3F300EC 0A032144
	ds_read_b32 v70, v5 offset:38240                           // 000000005E78: D86C9560 46000005
	ds_read_b32 v71, v5 offset:42592                           // 000000005E80: D86CA660 47000005
	v_mfma_f32_16x16x32_fp8_fp8 v[236:239], a[70:71], v[146:147], v[236:239]// 000000005E88: D3F300EC 0FB32546
	v_mfma_f32_16x16x32_fp8_fp8 v[240:243], a[72:73], v[128:129], 0// 000000005E90: D3F300F0 0A030148
	ds_read_b32 v72, v5 offset:46848                           // 000000005E98: D86CB700 48000005
	ds_read_b32 v73, v5 offset:51200                           // 000000005EA0: D86CC800 49000005
	v_mfma_f32_16x16x32_fp8_fp8 v[240:243], a[74:75], v[130:131], v[240:243]// 000000005EA8: D3F300F0 0FC3054A
	buffer_load_dwordx4 a[8:11], v50, s[12:15], 0 offen        // 000000005EB0: E05C1000 80830832
	v_mfma_f32_16x16x32_fp8_fp8 v[244:247], a[72:73], v[144:145], 0// 000000005EB8: D3F300F4 0A032148
	ds_read_b32 v74, v5 offset:46880                           // 000000005EC0: D86CB720 4A000005
	ds_read_b32 v75, v5 offset:51232                           // 000000005EC8: D86CC820 4B000005
	v_mfma_f32_16x16x32_fp8_fp8 v[244:247], a[74:75], v[146:147], v[244:247]// 000000005ED0: D3F300F4 0FD3254A
	v_mfma_f32_16x16x32_fp8_fp8 v[248:251], a[76:77], v[128:129], 0// 000000005ED8: D3F300F8 0A03014C
	ds_read_b32 v76, v5 offset:46912                           // 000000005EE0: D86CB740 4C000005
	ds_read_b32 v77, v5 offset:51264                           // 000000005EE8: D86CC840 4D000005
	v_mfma_f32_16x16x32_fp8_fp8 v[248:251], a[78:79], v[130:131], v[248:251]// 000000005EF0: D3F300F8 0FE3054E
	buffer_load_dwordx4 a[12:15], v51, s[12:15], 0 offen       // 000000005EF8: E05C1000 80830C33
	s_add_u32 s12, s78, s12                                    // 000000005F00: 800C0C4E
	s_addc_u32 s13, 0, s13                                     // 000000005F04: 820D0D80
	v_mfma_f32_16x16x32_fp8_fp8 v[252:255], a[76:77], v[144:145], 0// 000000005F08: D3F300FC 0A03214C
	ds_read_b32 v78, v5 offset:46944                           // 000000005F10: D86CB760 4E000005
	ds_read_b32 v79, v5 offset:51296                           // 000000005F18: D86CC860 4F000005
	v_mfma_f32_16x16x32_fp8_fp8 v[252:255], a[78:79], v[146:147], v[252:255]// 000000005F20: D3F300FC 0FF3254E
	s_waitcnt vmcnt(13)                                        // 000000005F28: BF8C0F7D
	v_mfma_f32_16x16x32_fp8_fp8 v[224:227], a[80:81], v[132:133], v[224:227]// 000000005F2C: D3F300E0 0F830950
	v_mfma_f32_16x16x32_fp8_fp8 v[224:227], a[82:83], v[134:135], v[224:227]// 000000005F34: D3F300E0 0F830D52
	buffer_load_dwordx4 a[16:19], v48, s[12:15], 0 offen       // 000000005F3C: E05C1000 80831030
	v_mfma_f32_16x16x32_fp8_fp8 v[228:231], a[80:81], v[148:149], v[228:231]// 000000005F44: D3F300E4 0F932950
	v_mfma_f32_16x16x32_fp8_fp8 v[228:231], a[82:83], v[150:151], v[228:231]// 000000005F4C: D3F300E4 0F932D52
	v_mfma_f32_16x16x32_fp8_fp8 v[232:235], a[84:85], v[132:133], v[232:235]// 000000005F54: D3F300E8 0FA30954
	v_mfma_f32_16x16x32_fp8_fp8 v[232:235], a[86:87], v[134:135], v[232:235]// 000000005F5C: D3F300E8 0FA30D56
	buffer_load_dwordx4 a[20:23], v49, s[12:15], 0 offen       // 000000005F64: E05C1000 80831431
	v_mfma_f32_16x16x32_fp8_fp8 v[236:239], a[84:85], v[148:149], v[236:239]// 000000005F6C: D3F300EC 0FB32954
	v_mfma_f32_16x16x32_fp8_fp8 v[236:239], a[86:87], v[150:151], v[236:239]// 000000005F74: D3F300EC 0FB32D56
	v_mfma_f32_16x16x32_fp8_fp8 v[240:243], a[88:89], v[132:133], v[240:243]// 000000005F7C: D3F300F0 0FC30958
	v_mfma_f32_16x16x32_fp8_fp8 v[240:243], a[90:91], v[134:135], v[240:243]// 000000005F84: D3F300F0 0FC30D5A
	buffer_load_dwordx4 a[24:27], v50, s[12:15], 0 offen       // 000000005F8C: E05C1000 80831832
	v_mfma_f32_16x16x32_fp8_fp8 v[244:247], a[88:89], v[148:149], v[244:247]// 000000005F94: D3F300F4 0FD32958
	v_mfma_f32_16x16x32_fp8_fp8 v[244:247], a[90:91], v[150:151], v[244:247]// 000000005F9C: D3F300F4 0FD32D5A
	v_mfma_f32_16x16x32_fp8_fp8 v[248:251], a[92:93], v[132:133], v[248:251]// 000000005FA4: D3F300F8 0FE3095C
	v_mfma_f32_16x16x32_fp8_fp8 v[248:251], a[94:95], v[134:135], v[248:251]// 000000005FAC: D3F300F8 0FE30D5E
	buffer_load_dwordx4 a[28:31], v51, s[12:15], 0 offen       // 000000005FB4: E05C1000 80831C33
	s_add_u32 s12, s78, s12                                    // 000000005FBC: 800C0C4E
	s_addc_u32 s13, 0, s13                                     // 000000005FC0: 820D0D80
	v_mfma_f32_16x16x32_fp8_fp8 v[252:255], a[92:93], v[148:149], v[252:255]// 000000005FC4: D3F300FC 0FF3295C
	v_mfma_f32_16x16x32_fp8_fp8 v[252:255], a[94:95], v[150:151], v[252:255]// 000000005FCC: D3F300FC 0FF32D5E
	v_mul_f32_dpp v56, v24, v32 row_newbcast:0 row_mask:0xf bank_mask:0xf// 000000005FD4: 0A7040FA FF015018
	v_mov_b32_e32 v57, v56                                     // 000000005FDC: 7E720338
	v_pk_mul_f32 v[224:225], v[56:57], v[224:225]              // 000000005FE0: D3B140E0 1803C138
	v_pk_mul_f32 v[226:227], v[56:57], v[226:227]              // 000000005FE8: D3B140E2 1803C538
	v_pk_mul_f32 v[232:233], v[56:57], v[232:233]              // 000000005FF0: D3B140E8 1803D138
	v_pk_mul_f32 v[234:235], v[56:57], v[234:235]              // 000000005FF8: D3B140EA 1803D538
	v_mul_f32_dpp v56, v24, v32 row_newbcast:1 row_mask:0xf bank_mask:0xf// 000000006000: 0A7040FA FF015118
	v_mov_b32_e32 v57, v56                                     // 000000006008: 7E720338
	v_pk_mul_f32 v[240:241], v[56:57], v[240:241]              // 00000000600C: D3B140F0 1803E138
	v_pk_mul_f32 v[242:243], v[56:57], v[242:243]              // 000000006014: D3B140F2 1803E538
	v_pk_mul_f32 v[248:249], v[56:57], v[248:249]              // 00000000601C: D3B140F8 1803F138
	v_pk_mul_f32 v[250:251], v[56:57], v[250:251]              // 000000006024: D3B140FA 1803F538
	v_mul_f32_dpp v56, v24, v33 row_newbcast:0 row_mask:0xf bank_mask:0xf// 00000000602C: 0A7042FA FF015018
	v_mov_b32_e32 v57, v56                                     // 000000006034: 7E720338
	v_pk_mul_f32 v[228:229], v[56:57], v[228:229]              // 000000006038: D3B140E4 1803C938
	v_pk_mul_f32 v[230:231], v[56:57], v[230:231]              // 000000006040: D3B140E6 1803CD38
	v_pk_mul_f32 v[236:237], v[56:57], v[236:237]              // 000000006048: D3B140EC 1803D938
	v_pk_mul_f32 v[238:239], v[56:57], v[238:239]              // 000000006050: D3B140EE 1803DD38
	v_mul_f32_dpp v56, v24, v33 row_newbcast:1 row_mask:0xf bank_mask:0xf// 000000006058: 0A7042FA FF015118
	v_mov_b32_e32 v57, v56                                     // 000000006060: 7E720338
	v_pk_mul_f32 v[244:245], v[56:57], v[244:245]              // 000000006064: D3B140F4 1803E938
	v_pk_mul_f32 v[246:247], v[56:57], v[246:247]              // 00000000606C: D3B140F6 1803ED38
	v_pk_mul_f32 v[252:253], v[56:57], v[252:253]              // 000000006074: D3B140FC 1803F938
	v_pk_mul_f32 v[254:255], v[56:57], v[254:255]              // 00000000607C: D3B140FE 1803FD38
	s_waitcnt vmcnt(13)                                        // 000000006084: BF8C0F7D
	v_mfma_f32_16x16x32_fp8_fp8 v[160:163], a[96:97], v[136:137], 0// 000000006088: D3F300A0 0A031160
	ds_write_b64 v4, v[192:193] offset:20736                   // 000000006090: D89A5100 0000C004
	v_mfma_f32_16x16x32_fp8_fp8 v[160:163], a[98:99], v[138:139], v[160:163]// 000000006098: D3F300A0 0E831562
	buffer_load_dwordx4 a[32:35], v48, s[12:15], 0 offen       // 0000000060A0: E05C1000 80832030
	v_mfma_f32_16x16x32_fp8_fp8 v[164:167], a[96:97], v[152:153], 0// 0000000060A8: D3F300A4 0A033160
	ds_write_b64 v4, v[194:195] offset:29440                   // 0000000060B0: D89A7300 0000C204
	v_mfma_f32_16x16x32_fp8_fp8 v[164:167], a[98:99], v[154:155], v[164:167]// 0000000060B8: D3F300A4 0E933562
	v_mfma_f32_16x16x32_fp8_fp8 v[168:171], a[100:101], v[136:137], 0// 0000000060C0: D3F300A8 0A031164
	ds_write_b64 v4, v[196:197] offset:22912                   // 0000000060C8: D89A5980 0000C404
	v_mfma_f32_16x16x32_fp8_fp8 v[168:171], a[102:103], v[138:139], v[168:171]// 0000000060D0: D3F300A8 0EA31566
	buffer_load_dwordx4 a[36:39], v49, s[12:15], 0 offen       // 0000000060D8: E05C1000 80832431
	v_mfma_f32_16x16x32_fp8_fp8 v[172:175], a[100:101], v[152:153], 0// 0000000060E0: D3F300AC 0A033164
	ds_write_b64 v4, v[198:199] offset:31616                   // 0000000060E8: D89A7B80 0000C604
	v_mfma_f32_16x16x32_fp8_fp8 v[172:175], a[102:103], v[154:155], v[172:175]// 0000000060F0: D3F300AC 0EB33566
	v_mfma_f32_16x16x32_fp8_fp8 v[176:179], a[104:105], v[136:137], 0// 0000000060F8: D3F300B0 0A031168
	ds_write_b64 v4, v[200:201] offset:25088                   // 000000006100: D89A6200 0000C804
	v_mfma_f32_16x16x32_fp8_fp8 v[176:179], a[106:107], v[138:139], v[176:179]// 000000006108: D3F300B0 0EC3156A
	buffer_load_dwordx4 a[40:43], v50, s[12:15], 0 offen       // 000000006110: E05C1000 80832832
	v_mfma_f32_16x16x32_fp8_fp8 v[180:183], a[104:105], v[152:153], 0// 000000006118: D3F300B4 0A033168
	ds_write_b64 v4, v[202:203] offset:33792                   // 000000006120: D89A8400 0000CA04
	v_mfma_f32_16x16x32_fp8_fp8 v[180:183], a[106:107], v[154:155], v[180:183]// 000000006128: D3F300B4 0ED3356A
	v_mfma_f32_16x16x32_fp8_fp8 v[184:187], a[108:109], v[136:137], 0// 000000006130: D3F300B8 0A03116C
	ds_write_b64 v4, v[204:205] offset:27264                   // 000000006138: D89A6A80 0000CC04
	v_mfma_f32_16x16x32_fp8_fp8 v[184:187], a[110:111], v[138:139], v[184:187]// 000000006140: D3F300B8 0EE3156E
	buffer_load_dwordx4 a[44:47], v51, s[12:15], 0 offen       // 000000006148: E05C1000 80832C33
	s_add_u32 s12, s78, s12                                    // 000000006150: 800C0C4E
	s_addc_u32 s13, 0, s13                                     // 000000006154: 820D0D80
	v_mfma_f32_16x16x32_fp8_fp8 v[188:191], a[108:109], v[152:153], 0// 000000006158: D3F300BC 0A03316C
	ds_write_b64 v4, v[206:207] offset:35968                   // 000000006160: D89A8C80 0000CE04
	v_mfma_f32_16x16x32_fp8_fp8 v[188:191], a[110:111], v[154:155], v[188:191]// 000000006168: D3F300BC 0EF3356E
	s_waitcnt vmcnt(13)                                        // 000000006170: BF8C0F7D
	v_mfma_f32_16x16x32_fp8_fp8 v[160:163], a[112:113], v[140:141], v[160:163]// 000000006174: D3F300A0 0E831970
	v_mfma_f32_16x16x32_fp8_fp8 v[160:163], a[114:115], v[142:143], v[160:163]// 00000000617C: D3F300A0 0E831D72
	buffer_load_dwordx4 a[48:51], v48, s[12:15], 0 offen       // 000000006184: E05C1000 80833030
	v_mfma_f32_16x16x32_fp8_fp8 v[164:167], a[112:113], v[156:157], v[164:167]// 00000000618C: D3F300A4 0E933970
	v_mfma_f32_16x16x32_fp8_fp8 v[164:167], a[114:115], v[158:159], v[164:167]// 000000006194: D3F300A4 0E933D72
	v_mfma_f32_16x16x32_fp8_fp8 v[168:171], a[116:117], v[140:141], v[168:171]// 00000000619C: D3F300A8 0EA31974
	v_mfma_f32_16x16x32_fp8_fp8 v[168:171], a[118:119], v[142:143], v[168:171]// 0000000061A4: D3F300A8 0EA31D76
	buffer_load_dwordx4 a[52:55], v49, s[12:15], 0 offen       // 0000000061AC: E05C1000 80833431
	v_mfma_f32_16x16x32_fp8_fp8 v[172:175], a[116:117], v[156:157], v[172:175]// 0000000061B4: D3F300AC 0EB33974
	v_mfma_f32_16x16x32_fp8_fp8 v[172:175], a[118:119], v[158:159], v[172:175]// 0000000061BC: D3F300AC 0EB33D76
	v_mfma_f32_16x16x32_fp8_fp8 v[176:179], a[120:121], v[140:141], v[176:179]// 0000000061C4: D3F300B0 0EC31978
	v_mfma_f32_16x16x32_fp8_fp8 v[176:179], a[122:123], v[142:143], v[176:179]// 0000000061CC: D3F300B0 0EC31D7A
	buffer_load_dwordx4 a[56:59], v50, s[12:15], 0 offen       // 0000000061D4: E05C1000 80833832
	v_mfma_f32_16x16x32_fp8_fp8 v[180:183], a[120:121], v[156:157], v[180:183]// 0000000061DC: D3F300B4 0ED33978
	v_mfma_f32_16x16x32_fp8_fp8 v[180:183], a[122:123], v[158:159], v[180:183]// 0000000061E4: D3F300B4 0ED33D7A
	v_mfma_f32_16x16x32_fp8_fp8 v[184:187], a[124:125], v[140:141], v[184:187]// 0000000061EC: D3F300B8 0EE3197C
	v_mfma_f32_16x16x32_fp8_fp8 v[184:187], a[126:127], v[142:143], v[184:187]// 0000000061F4: D3F300B8 0EE31D7E
	buffer_load_dwordx4 a[60:63], v51, s[12:15], 0 offen       // 0000000061FC: E05C1000 80833C33
	v_mfma_f32_16x16x32_fp8_fp8 v[188:191], a[124:125], v[156:157], v[188:191]// 000000006204: D3F300BC 0EF3397C
	v_mfma_f32_16x16x32_fp8_fp8 v[188:191], a[126:127], v[158:159], v[188:191]// 00000000620C: D3F300BC 0EF33D7E
	v_mul_f32_dpp v56, v24, v34 row_newbcast:2 row_mask:0xf bank_mask:0xf// 000000006214: 0A7044FA FF015218
	v_mov_b32_e32 v57, v56                                     // 00000000621C: 7E720338
	v_pk_fma_f32 v[224:225], v[160:161], v[56:57], v[224:225]  // 000000006220: D3B040E0 1F8271A0
	v_pk_fma_f32 v[226:227], v[162:163], v[56:57], v[226:227]  // 000000006228: D3B040E2 1F8A71A2
	v_pk_fma_f32 v[232:233], v[168:169], v[56:57], v[232:233]  // 000000006230: D3B040E8 1FA271A8
	v_pk_fma_f32 v[234:235], v[170:171], v[56:57], v[234:235]  // 000000006238: D3B040EA 1FAA71AA
	v_mul_f32_dpp v56, v24, v34 row_newbcast:3 row_mask:0xf bank_mask:0xf// 000000006240: 0A7044FA FF015318
	v_mov_b32_e32 v57, v56                                     // 000000006248: 7E720338
	v_pk_fma_f32 v[240:241], v[176:177], v[56:57], v[240:241]  // 00000000624C: D3B040F0 1FC271B0
	v_pk_fma_f32 v[242:243], v[178:179], v[56:57], v[242:243]  // 000000006254: D3B040F2 1FCA71B2
	v_pk_fma_f32 v[248:249], v[184:185], v[56:57], v[248:249]  // 00000000625C: D3B040F8 1FE271B8
	v_pk_fma_f32 v[250:251], v[186:187], v[56:57], v[250:251]  // 000000006264: D3B040FA 1FEA71BA
	v_mul_f32_dpp v56, v24, v35 row_newbcast:2 row_mask:0xf bank_mask:0xf// 00000000626C: 0A7046FA FF015218
	v_mov_b32_e32 v57, v56                                     // 000000006274: 7E720338
	v_pk_fma_f32 v[228:229], v[164:165], v[56:57], v[228:229]  // 000000006278: D3B040E4 1F9271A4
	v_pk_fma_f32 v[230:231], v[166:167], v[56:57], v[230:231]  // 000000006280: D3B040E6 1F9A71A6
	v_pk_fma_f32 v[236:237], v[172:173], v[56:57], v[236:237]  // 000000006288: D3B040EC 1FB271AC
	v_pk_fma_f32 v[238:239], v[174:175], v[56:57], v[238:239]  // 000000006290: D3B040EE 1FBA71AE
	v_mul_f32_dpp v56, v24, v35 row_newbcast:3 row_mask:0xf bank_mask:0xf// 000000006298: 0A7046FA FF015318
	v_mov_b32_e32 v57, v56                                     // 0000000062A0: 7E720338
	v_pk_fma_f32 v[244:245], v[180:181], v[56:57], v[244:245]  // 0000000062A4: D3B040F4 1FD271B4
	v_pk_fma_f32 v[246:247], v[182:183], v[56:57], v[246:247]  // 0000000062AC: D3B040F6 1FDA71B6
	v_pk_fma_f32 v[252:253], v[188:189], v[56:57], v[252:253]  // 0000000062B4: D3B040FC 1FF271BC
	v_pk_fma_f32 v[254:255], v[190:191], v[56:57], v[254:255]  // 0000000062BC: D3B040FE 1FFA71BE
	s_add_u32 s60, 0x200, s80                                  // 0000000062C4: 803C50FF 00000200
	s_cmp_lt_u32 s60, s81                                      // 0000000062CC: BF0A513C
	s_cselect_b32 s56, s56, 0                                  // 0000000062D0: 85388038
	s_cselect_b32 s78, s78, 0                                  // 0000000062D4: 854E804E
	s_cselect_b32 s79, s79, 0                                  // 0000000062D8: 854F804F
	s_add_u32 s12, s56, s12                                    // 0000000062DC: 800C0C38
	s_addc_u32 s13, 0, s13                                     // 0000000062E0: 820D0D80
	s_add_u32 s16, s79, s16                                    // 0000000062E4: 8010104F
	s_addc_u32 s17, 0, s17                                     // 0000000062E8: 82111180
	v_mov_b32_e32 v56, v25                                     // 0000000062EC: 7E700319
	v_mov_b32_e32 v57, v25                                     // 0000000062F0: 7E720319
	v_pk_mul_f32 v[224:225], v[56:57], v[224:225]              // 0000000062F4: D3B140E0 1803C138
	v_pk_mul_f32 v[226:227], v[56:57], v[226:227]              // 0000000062FC: D3B140E2 1803C538
	v_pk_mul_f32 v[232:233], v[56:57], v[232:233]              // 000000006304: D3B140E8 1803D138
	v_pk_mul_f32 v[234:235], v[56:57], v[234:235]              // 00000000630C: D3B140EA 1803D538
	v_pk_mul_f32 v[240:241], v[56:57], v[240:241]              // 000000006314: D3B140F0 1803E138
	v_pk_mul_f32 v[242:243], v[56:57], v[242:243]              // 00000000631C: D3B140F2 1803E538
	v_pk_mul_f32 v[248:249], v[56:57], v[248:249]              // 000000006324: D3B140F8 1803F138
	v_pk_mul_f32 v[250:251], v[56:57], v[250:251]              // 00000000632C: D3B140FA 1803F538
	v_mov_b32_e32 v56, v26                                     // 000000006334: 7E70031A
	v_mov_b32_e32 v57, v26                                     // 000000006338: 7E72031A
	v_pk_mul_f32 v[228:229], v[56:57], v[228:229]              // 00000000633C: D3B140E4 1803C938
	v_pk_mul_f32 v[230:231], v[56:57], v[230:231]              // 000000006344: D3B140E6 1803CD38
	v_pk_mul_f32 v[236:237], v[56:57], v[236:237]              // 00000000634C: D3B140EC 1803D938
	v_pk_mul_f32 v[238:239], v[56:57], v[238:239]              // 000000006354: D3B140EE 1803DD38
	v_pk_mul_f32 v[244:245], v[56:57], v[244:245]              // 00000000635C: D3B140F4 1803E938
	v_pk_mul_f32 v[246:247], v[56:57], v[246:247]              // 000000006364: D3B140F6 1803ED38
	v_pk_mul_f32 v[252:253], v[56:57], v[252:253]              // 00000000636C: D3B140FC 1803F938
	v_pk_mul_f32 v[254:255], v[56:57], v[254:255]              // 000000006374: D3B140FE 1803FD38
	v_cvt_pkrtz_f16_f32 v224, v224, v225                       // 00000000637C: D29600E0 0003C3E0
	v_cvt_pkrtz_f16_f32 v225, v226, v227                       // 000000006384: D29600E1 0003C7E2
	v_cvt_pkrtz_f16_f32 v226, v228, v229                       // 00000000638C: D29600E2 0003CBE4
	v_cvt_pkrtz_f16_f32 v227, v230, v231                       // 000000006394: D29600E3 0003CFE6
	v_cvt_pkrtz_f16_f32 v228, v232, v233                       // 00000000639C: D29600E4 0003D3E8
	v_cvt_pkrtz_f16_f32 v229, v234, v235                       // 0000000063A4: D29600E5 0003D7EA
	v_cvt_pkrtz_f16_f32 v230, v236, v237                       // 0000000063AC: D29600E6 0003DBEC
	v_cvt_pkrtz_f16_f32 v231, v238, v239                       // 0000000063B4: D29600E7 0003DFEE
	v_cvt_pkrtz_f16_f32 v232, v240, v241                       // 0000000063BC: D29600E8 0003E3F0
	v_cvt_pkrtz_f16_f32 v233, v242, v243                       // 0000000063C4: D29600E9 0003E7F2
	v_cvt_pkrtz_f16_f32 v234, v244, v245                       // 0000000063CC: D29600EA 0003EBF4
	v_cvt_pkrtz_f16_f32 v235, v246, v247                       // 0000000063D4: D29600EB 0003EFF6
	v_cvt_pkrtz_f16_f32 v236, v248, v249                       // 0000000063DC: D29600EC 0003F3F8
	v_cvt_pkrtz_f16_f32 v237, v250, v251                       // 0000000063E4: D29600ED 0003F7FA
	v_cvt_pkrtz_f16_f32 v238, v252, v253                       // 0000000063EC: D29600EE 0003FBFC
	v_cvt_pkrtz_f16_f32 v239, v254, v255                       // 0000000063F4: D29600EF 0003FFFE
	s_cmp_ge_u32 s80, 0x200                                    // 0000000063FC: BF09FF50 00000200
	s_cselect_b32 s59, 0x200, s59                              // 000000006404: 853B3BFF 00000200
	s_setvskip s20, 0                                          // 00000000640C: BF108014
	global_atomic_pk_add_f16 v80, v64, s[8:9]                  // 000000006410: DD388000 00084050
	s_setvskip 0, 0                                            // 000000006418: BF108080
	s_setvskip s20, 0                                          // 00000000641C: BF108014
	global_atomic_pk_add_f16 v80, v65, s[8:9] offset:256       // 000000006420: DD388100 00084150
	s_setvskip 0, 0                                            // 000000006428: BF108080
	s_setvskip s20, 1                                          // 00000000642C: BF108114
	global_atomic_pk_add_f16 v82, v66, s[8:9]                  // 000000006430: DD388000 00084252
	s_setvskip 0, 0                                            // 000000006438: BF108080
	s_setvskip s20, 1                                          // 00000000643C: BF108114
	global_atomic_pk_add_f16 v82, v67, s[8:9] offset:256       // 000000006440: DD388100 00084352
	s_setvskip 0, 0                                            // 000000006448: BF108080
	s_setvskip s20, 2                                          // 00000000644C: BF108214
	global_atomic_pk_add_f16 v84, v68, s[8:9]                  // 000000006450: DD388000 00084454
	s_setvskip 0, 0                                            // 000000006458: BF108080
	s_setvskip s20, 2                                          // 00000000645C: BF108214
	global_atomic_pk_add_f16 v84, v69, s[8:9] offset:256       // 000000006460: DD388100 00084554
	s_setvskip 0, 0                                            // 000000006468: BF108080
	s_setvskip s20, 3                                          // 00000000646C: BF108314
	global_atomic_pk_add_f16 v86, v70, s[8:9]                  // 000000006470: DD388000 00084656
	s_setvskip 0, 0                                            // 000000006478: BF108080
	s_setvskip s20, 3                                          // 00000000647C: BF108314
	global_atomic_pk_add_f16 v86, v71, s[8:9] offset:256       // 000000006480: DD388100 00084756
	s_setvskip 0, 0                                            // 000000006488: BF108080
	s_setvskip s20, 4                                          // 00000000648C: BF108414
	global_atomic_pk_add_f16 v88, v72, s[8:9]                  // 000000006490: DD388000 00084858
	s_setvskip 0, 0                                            // 000000006498: BF108080
	s_setvskip s20, 4                                          // 00000000649C: BF108414
	global_atomic_pk_add_f16 v88, v73, s[8:9] offset:256       // 0000000064A0: DD388100 00084958
	s_setvskip 0, 0                                            // 0000000064A8: BF108080
	s_setvskip s20, 5                                          // 0000000064AC: BF108514
	global_atomic_pk_add_f16 v90, v74, s[8:9]                  // 0000000064B0: DD388000 00084A5A
	s_setvskip 0, 0                                            // 0000000064B8: BF108080
	s_setvskip s20, 5                                          // 0000000064BC: BF108514
	global_atomic_pk_add_f16 v90, v75, s[8:9] offset:256       // 0000000064C0: DD388100 00084B5A
	s_setvskip 0, 0                                            // 0000000064C8: BF108080
	s_setvskip s20, 6                                          // 0000000064CC: BF108614
	global_atomic_pk_add_f16 v92, v76, s[8:9]                  // 0000000064D0: DD388000 00084C5C
	s_setvskip 0, 0                                            // 0000000064D8: BF108080
	s_setvskip s20, 6                                          // 0000000064DC: BF108614
	global_atomic_pk_add_f16 v92, v77, s[8:9] offset:256       // 0000000064E0: DD388100 00084D5C
	s_setvskip 0, 0                                            // 0000000064E8: BF108080
	s_setvskip s20, 7                                          // 0000000064EC: BF108714
	global_atomic_pk_add_f16 v94, v78, s[8:9]                  // 0000000064F0: DD388000 00084E5E
	s_setvskip 0, 0                                            // 0000000064F8: BF108080
	s_setvskip s20, 7                                          // 0000000064FC: BF108714
	global_atomic_pk_add_f16 v94, v79, s[8:9] offset:256       // 000000006500: DD388100 00084F5E
	s_setvskip 0, 0                                            // 000000006508: BF108080
	s_add_u32 s8, s59, s8                                      // 00000000650C: 8008083B
	s_addc_u32 s9, 0, s9                                       // 000000006510: 82090980
	s_addk_i32 s80, 0x100                                      // 000000006514: B7500100
	s_cmp_lt_i32 s80, s81                                      // 000000006518: BF045150
	s_cbranch_scc0 label_0DC9                                  // 00000000651C: BF840001
	s_branch label_0A30                                        // 000000006520: BF82FC67

0000000000006524 <label_0DC9>:
	s_nop 0                                                    // 000000006524: BF800000
	s_nop 0                                                    // 000000006528: BF800000
	s_branch label_18F7                                        // 00000000652C: BF820B2B

0000000000006530 <label_0DCC>:
	s_waitcnt vmcnt(8) lgkmcnt(0)                              // 000000006530: BF8C0078
	s_barrier                                                  // 000000006534: BF8A0000
	v_mfma_f32_16x16x32_fp8_fp8 v[160:163], a[0:1], v[192:193], 0// 000000006538: D3F300A0 0A038100
	buffer_load_dwordx4 a[64:67], v44, s[92:95], 0 offen       // 000000006540: E05C1000 8097402C
	v_mfma_f32_16x16x32_fp8_fp8 v[160:163], a[2:3], v[194:195], v[160:163]// 000000006548: D3F300A0 0E838502
	v_mfma_f32_16x16x32_fp8_fp8 v[160:163], a[4:5], v[196:197], v[160:163]// 000000006550: D3F300A0 0E838904
	buffer_load_dword v36, s[20:23], 0 offen lds               // 000000006558: E0511000 80050024
	s_add_u32 m0, 0x100, s51                                   // 000000006560: 807C33FF 00000100
	v_mfma_f32_16x16x32_fp8_fp8 v[160:163], a[6:7], v[198:199], v[160:163]// 000000006568: D3F300A0 0E838D06
	v_mfma_f32_16x16x32_fp8_fp8 v[164:167], a[0:1], v[208:209], 0// 000000006570: D3F300A4 0A03A100
	buffer_load_dwordx4 a[68:71], v44, s[92:95], 0 offen offset:1024// 000000006578: E05C1400 8097442C
	v_mfma_f32_16x16x32_fp8_fp8 v[164:167], a[2:3], v[210:211], v[164:167]// 000000006580: D3F300A4 0E93A502
	v_mfma_f32_16x16x32_fp8_fp8 v[164:167], a[4:5], v[212:213], v[164:167]// 000000006588: D3F300A4 0E93A904
	buffer_load_dword v37, s[20:23], 0 offen lds               // 000000006590: E0511000 80050025
	s_add_u32 m0, 0x200, s51                                   // 000000006598: 807C33FF 00000200
	v_mfma_f32_16x16x32_fp8_fp8 v[164:167], a[6:7], v[214:215], v[164:167]// 0000000065A0: D3F300A4 0E93AD06
	v_mfma_f32_16x16x32_fp8_fp8 v[168:171], a[16:17], v[192:193], 0// 0000000065A8: D3F300A8 0A038110
	buffer_load_dwordx4 a[80:83], v45, s[92:95], 0 offen       // 0000000065B0: E05C1000 8097502D
	v_mfma_f32_16x16x32_fp8_fp8 v[168:171], a[18:19], v[194:195], v[168:171]// 0000000065B8: D3F300A8 0EA38512
	v_mfma_f32_16x16x32_fp8_fp8 v[168:171], a[20:21], v[196:197], v[168:171]// 0000000065C0: D3F300A8 0EA38914
	buffer_load_dword v38, s[20:23], 0 offen lds               // 0000000065C8: E0511000 80050026
	s_add_u32 m0, 0x300, s51                                   // 0000000065D0: 807C33FF 00000300
	v_mfma_f32_16x16x32_fp8_fp8 v[168:171], a[22:23], v[198:199], v[168:171]// 0000000065D8: D3F300A8 0EA38D16
	v_mfma_f32_16x16x32_fp8_fp8 v[172:175], a[16:17], v[208:209], 0// 0000000065E0: D3F300AC 0A03A110
	buffer_load_dwordx4 a[84:87], v45, s[92:95], 0 offen offset:1024// 0000000065E8: E05C1400 8097542D
	v_mfma_f32_16x16x32_fp8_fp8 v[172:175], a[18:19], v[210:211], v[172:175]// 0000000065F0: D3F300AC 0EB3A512
	v_mfma_f32_16x16x32_fp8_fp8 v[172:175], a[20:21], v[212:213], v[172:175]// 0000000065F8: D3F300AC 0EB3A914
	buffer_load_dword v39, s[20:23], 0 offen lds               // 000000006600: E0511000 80050027
	s_add_u32 m0, 0x400, s51                                   // 000000006608: 807C33FF 00000400
	v_mfma_f32_16x16x32_fp8_fp8 v[172:175], a[22:23], v[214:215], v[172:175]// 000000006610: D3F300AC 0EB3AD16
	v_mfma_f32_16x16x32_fp8_fp8 v[176:179], a[32:33], v[192:193], 0// 000000006618: D3F300B0 0A038120
	buffer_load_dwordx4 a[96:99], v46, s[92:95], 0 offen       // 000000006620: E05C1000 8097602E
	v_mfma_f32_16x16x32_fp8_fp8 v[176:179], a[34:35], v[194:195], v[176:179]// 000000006628: D3F300B0 0EC38522
	v_mfma_f32_16x16x32_fp8_fp8 v[176:179], a[36:37], v[196:197], v[176:179]// 000000006630: D3F300B0 0EC38924
	buffer_load_dword v40, s[20:23], 0 offen lds               // 000000006638: E0511000 80050028
	s_add_u32 m0, 0x500, s51                                   // 000000006640: 807C33FF 00000500
	v_mfma_f32_16x16x32_fp8_fp8 v[176:179], a[38:39], v[198:199], v[176:179]// 000000006648: D3F300B0 0EC38D26
	v_mfma_f32_16x16x32_fp8_fp8 v[180:183], a[32:33], v[208:209], 0// 000000006650: D3F300B4 0A03A120
	buffer_load_dwordx4 a[100:103], v46, s[92:95], 0 offen offset:1024// 000000006658: E05C1400 8097642E
	v_mfma_f32_16x16x32_fp8_fp8 v[180:183], a[34:35], v[210:211], v[180:183]// 000000006660: D3F300B4 0ED3A522
	v_mfma_f32_16x16x32_fp8_fp8 v[180:183], a[36:37], v[212:213], v[180:183]// 000000006668: D3F300B4 0ED3A924
	buffer_load_dword v41, s[20:23], 0 offen lds               // 000000006670: E0511000 80050029
	s_add_u32 m0, 0x600, s51                                   // 000000006678: 807C33FF 00000600
	v_mfma_f32_16x16x32_fp8_fp8 v[180:183], a[38:39], v[214:215], v[180:183]// 000000006680: D3F300B4 0ED3AD26
	v_mfma_f32_16x16x32_fp8_fp8 v[184:187], a[48:49], v[192:193], 0// 000000006688: D3F300B8 0A038130
	buffer_load_dwordx4 a[112:115], v47, s[92:95], 0 offen     // 000000006690: E05C1000 8097702F
	v_mfma_f32_16x16x32_fp8_fp8 v[184:187], a[50:51], v[194:195], v[184:187]// 000000006698: D3F300B8 0EE38532
	v_mfma_f32_16x16x32_fp8_fp8 v[184:187], a[52:53], v[196:197], v[184:187]// 0000000066A0: D3F300B8 0EE38934
	buffer_load_dword v42, s[20:23], 0 offen lds               // 0000000066A8: E0511000 8005002A
	s_add_u32 m0, 0x700, s51                                   // 0000000066B0: 807C33FF 00000700
	v_mfma_f32_16x16x32_fp8_fp8 v[184:187], a[54:55], v[198:199], v[184:187]// 0000000066B8: D3F300B8 0EE38D36
	v_mfma_f32_16x16x32_fp8_fp8 v[188:191], a[48:49], v[208:209], 0// 0000000066C0: D3F300BC 0A03A130
	buffer_load_dwordx4 a[116:119], v47, s[92:95], 0 offen offset:1024// 0000000066C8: E05C1400 8097742F
	v_mfma_f32_16x16x32_fp8_fp8 v[188:191], a[50:51], v[210:211], v[188:191]// 0000000066D0: D3F300BC 0EF3A532
	v_mfma_f32_16x16x32_fp8_fp8 v[188:191], a[52:53], v[212:213], v[188:191]// 0000000066D8: D3F300BC 0EF3A934
	buffer_load_dword v43, s[20:23], 0 offen lds               // 0000000066E0: E0511000 8005002B
	s_add_u32 m0, s51, s76                                     // 0000000066E8: 807C4C33
	v_mfma_f32_16x16x32_fp8_fp8 v[188:191], a[54:55], v[214:215], v[188:191]// 0000000066EC: D3F300BC 0EF3AD36
	buffer_load_dword v7, s[28:31], 0 offen lds                // 0000000066F4: E0511000 80070007
	s_add_u32 m0, 0, s50                                       // 0000000066FC: 807C3280
	buffer_load_dword v24, v13, s[32:35], 0 offen              // 000000006700: E0501000 8008180D
	v_mul_f32_dpp v56, v23, v15 row_newbcast:0 row_mask:0xf bank_mask:0xf// 000000006708: 0A701EFA FF015017
	v_mov_b32_e32 v57, v56                                     // 000000006710: 7E720338
	v_pk_fma_f32 v[128:129], v[160:161], v[56:57], v[128:129]  // 000000006714: D3B04080 1E0271A0
	v_pk_fma_f32 v[130:131], v[162:163], v[56:57], v[130:131]  // 00000000671C: D3B04082 1E0A71A2
	v_pk_fma_f32 v[136:137], v[168:169], v[56:57], v[136:137]  // 000000006724: D3B04088 1E2271A8
	v_pk_fma_f32 v[138:139], v[170:171], v[56:57], v[138:139]  // 00000000672C: D3B0408A 1E2A71AA
	v_mul_f32_dpp v56, v23, v15 row_newbcast:1 row_mask:0xf bank_mask:0xf// 000000006734: 0A701EFA FF015117
	v_mov_b32_e32 v57, v56                                     // 00000000673C: 7E720338
	v_pk_fma_f32 v[144:145], v[176:177], v[56:57], v[144:145]  // 000000006740: D3B04090 1E4271B0
	v_pk_fma_f32 v[146:147], v[178:179], v[56:57], v[146:147]  // 000000006748: D3B04092 1E4A71B2
	v_pk_fma_f32 v[152:153], v[184:185], v[56:57], v[152:153]  // 000000006750: D3B04098 1E6271B8
	v_pk_fma_f32 v[154:155], v[186:187], v[56:57], v[154:155]  // 000000006758: D3B0409A 1E6A71BA
	v_mul_f32_dpp v56, v23, v16 row_newbcast:0 row_mask:0xf bank_mask:0xf// 000000006760: 0A7020FA FF015017
	v_mov_b32_e32 v57, v56                                     // 000000006768: 7E720338
	v_pk_fma_f32 v[132:133], v[164:165], v[56:57], v[132:133]  // 00000000676C: D3B04084 1E1271A4
	v_pk_fma_f32 v[134:135], v[166:167], v[56:57], v[134:135]  // 000000006774: D3B04086 1E1A71A6
	v_pk_fma_f32 v[140:141], v[172:173], v[56:57], v[140:141]  // 00000000677C: D3B0408C 1E3271AC
	v_pk_fma_f32 v[142:143], v[174:175], v[56:57], v[142:143]  // 000000006784: D3B0408E 1E3A71AE
	v_mul_f32_dpp v56, v23, v16 row_newbcast:1 row_mask:0xf bank_mask:0xf// 00000000678C: 0A7020FA FF015117
	v_mov_b32_e32 v57, v56                                     // 000000006794: 7E720338
	v_pk_fma_f32 v[148:149], v[180:181], v[56:57], v[148:149]  // 000000006798: D3B04094 1E5271B4
	v_pk_fma_f32 v[150:151], v[182:183], v[56:57], v[150:151]  // 0000000067A0: D3B04096 1E5A71B6
	v_pk_fma_f32 v[156:157], v[188:189], v[56:57], v[156:157]  // 0000000067A8: D3B0409C 1E7271BC
	v_pk_fma_f32 v[158:159], v[190:191], v[56:57], v[158:159]  // 0000000067B0: D3B0409E 1E7A71BE
	s_waitcnt vmcnt(22)                                        // 0000000067B8: BF8C4F76
	v_mfma_f32_16x16x32_fp8_fp8 v[160:163], a[8:9], v[200:201], 0// 0000000067BC: D3F300A0 0A039108
	buffer_load_dwordx4 a[72:75], v44, s[92:95], 0 offen offset:2048// 0000000067C4: E05C1800 8097482C
	v_mfma_f32_16x16x32_fp8_fp8 v[160:163], a[10:11], v[202:203], v[160:163]// 0000000067CC: D3F300A0 0E83950A
	v_mfma_f32_16x16x32_fp8_fp8 v[160:163], a[12:13], v[204:205], v[160:163]// 0000000067D4: D3F300A0 0E83990C
	v_mfma_f32_16x16x32_fp8_fp8 v[160:163], a[14:15], v[206:207], v[160:163]// 0000000067DC: D3F300A0 0E839D0E
	v_mfma_f32_16x16x32_fp8_fp8 v[164:167], a[8:9], v[216:217], 0// 0000000067E4: D3F300A4 0A03B108
	buffer_load_dwordx4 a[76:79], v44, s[92:95], 0 offen offset:3072// 0000000067EC: E05C1C00 80974C2C
	v_mfma_f32_16x16x32_fp8_fp8 v[164:167], a[10:11], v[218:219], v[164:167]// 0000000067F4: D3F300A4 0E93B50A
	v_mfma_f32_16x16x32_fp8_fp8 v[164:167], a[12:13], v[220:221], v[164:167]// 0000000067FC: D3F300A4 0E93B90C
	v_mfma_f32_16x16x32_fp8_fp8 v[164:167], a[14:15], v[222:223], v[164:167]// 000000006804: D3F300A4 0E93BD0E
	v_mfma_f32_16x16x32_fp8_fp8 v[168:171], a[24:25], v[200:201], 0// 00000000680C: D3F300A8 0A039118
	buffer_load_dwordx4 a[88:91], v45, s[92:95], 0 offen offset:2048// 000000006814: E05C1800 8097582D
	v_mfma_f32_16x16x32_fp8_fp8 v[168:171], a[26:27], v[202:203], v[168:171]// 00000000681C: D3F300A8 0EA3951A
	v_mfma_f32_16x16x32_fp8_fp8 v[168:171], a[28:29], v[204:205], v[168:171]// 000000006824: D3F300A8 0EA3991C
	v_mfma_f32_16x16x32_fp8_fp8 v[168:171], a[30:31], v[206:207], v[168:171]// 00000000682C: D3F300A8 0EA39D1E
	v_mfma_f32_16x16x32_fp8_fp8 v[172:175], a[24:25], v[216:217], 0// 000000006834: D3F300AC 0A03B118
	buffer_load_dwordx4 a[92:95], v45, s[92:95], 0 offen offset:3072// 00000000683C: E05C1C00 80975C2D
	v_mfma_f32_16x16x32_fp8_fp8 v[172:175], a[26:27], v[218:219], v[172:175]// 000000006844: D3F300AC 0EB3B51A
	v_mfma_f32_16x16x32_fp8_fp8 v[172:175], a[28:29], v[220:221], v[172:175]// 00000000684C: D3F300AC 0EB3B91C
	v_mfma_f32_16x16x32_fp8_fp8 v[172:175], a[30:31], v[222:223], v[172:175]// 000000006854: D3F300AC 0EB3BD1E
	s_waitcnt vmcnt(22)                                        // 00000000685C: BF8C4F76
	v_mfma_f32_16x16x32_fp8_fp8 v[176:179], a[40:41], v[200:201], 0// 000000006860: D3F300B0 0A039128
	buffer_load_dwordx4 a[104:107], v46, s[92:95], 0 offen offset:2048// 000000006868: E05C1800 8097682E
	v_mfma_f32_16x16x32_fp8_fp8 v[176:179], a[42:43], v[202:203], v[176:179]// 000000006870: D3F300B0 0EC3952A
	v_mfma_f32_16x16x32_fp8_fp8 v[176:179], a[44:45], v[204:205], v[176:179]// 000000006878: D3F300B0 0EC3992C
	v_mfma_f32_16x16x32_fp8_fp8 v[176:179], a[46:47], v[206:207], v[176:179]// 000000006880: D3F300B0 0EC39D2E
	v_mfma_f32_16x16x32_fp8_fp8 v[180:183], a[40:41], v[216:217], 0// 000000006888: D3F300B4 0A03B128
	buffer_load_dwordx4 a[108:111], v46, s[92:95], 0 offen offset:3072// 000000006890: E05C1C00 80976C2E
	v_mfma_f32_16x16x32_fp8_fp8 v[180:183], a[42:43], v[218:219], v[180:183]// 000000006898: D3F300B4 0ED3B52A
	v_mfma_f32_16x16x32_fp8_fp8 v[180:183], a[44:45], v[220:221], v[180:183]// 0000000068A0: D3F300B4 0ED3B92C
	v_mfma_f32_16x16x32_fp8_fp8 v[180:183], a[46:47], v[222:223], v[180:183]// 0000000068A8: D3F300B4 0ED3BD2E
	v_mfma_f32_16x16x32_fp8_fp8 v[184:187], a[56:57], v[200:201], 0// 0000000068B0: D3F300B8 0A039138
	buffer_load_dwordx4 a[120:123], v47, s[92:95], 0 offen offset:2048// 0000000068B8: E05C1800 8097782F
	v_mfma_f32_16x16x32_fp8_fp8 v[184:187], a[58:59], v[202:203], v[184:187]// 0000000068C0: D3F300B8 0EE3953A
	v_mfma_f32_16x16x32_fp8_fp8 v[184:187], a[60:61], v[204:205], v[184:187]// 0000000068C8: D3F300B8 0EE3993C
	v_mfma_f32_16x16x32_fp8_fp8 v[184:187], a[62:63], v[206:207], v[184:187]// 0000000068D0: D3F300B8 0EE39D3E
	v_mfma_f32_16x16x32_fp8_fp8 v[188:191], a[56:57], v[216:217], 0// 0000000068D8: D3F300BC 0A03B138
	buffer_load_dwordx4 a[124:127], v47, s[92:95], 0 offen offset:3072// 0000000068E0: E05C1C00 80977C2F
	v_mfma_f32_16x16x32_fp8_fp8 v[188:191], a[58:59], v[218:219], v[188:191]// 0000000068E8: D3F300BC 0EF3B53A
	v_mfma_f32_16x16x32_fp8_fp8 v[188:191], a[60:61], v[220:221], v[188:191]// 0000000068F0: D3F300BC 0EF3B93C
	v_mfma_f32_16x16x32_fp8_fp8 v[188:191], a[62:63], v[222:223], v[188:191]// 0000000068F8: D3F300BC 0EF3BD3E
	v_mul_f32_dpp v56, v23, v17 row_newbcast:2 row_mask:0xf bank_mask:0xf// 000000006900: 0A7022FA FF015217
	v_mov_b32_e32 v57, v56                                     // 000000006908: 7E720338
	v_pk_fma_f32 v[128:129], v[160:161], v[56:57], v[128:129]  // 00000000690C: D3B04080 1E0271A0
	v_pk_fma_f32 v[130:131], v[162:163], v[56:57], v[130:131]  // 000000006914: D3B04082 1E0A71A2
	v_pk_fma_f32 v[136:137], v[168:169], v[56:57], v[136:137]  // 00000000691C: D3B04088 1E2271A8
	v_pk_fma_f32 v[138:139], v[170:171], v[56:57], v[138:139]  // 000000006924: D3B0408A 1E2A71AA
	v_mul_f32_dpp v56, v23, v17 row_newbcast:3 row_mask:0xf bank_mask:0xf// 00000000692C: 0A7022FA FF015317
	v_mov_b32_e32 v57, v56                                     // 000000006934: 7E720338
	v_pk_fma_f32 v[144:145], v[176:177], v[56:57], v[144:145]  // 000000006938: D3B04090 1E4271B0
	v_pk_fma_f32 v[146:147], v[178:179], v[56:57], v[146:147]  // 000000006940: D3B04092 1E4A71B2
	v_pk_fma_f32 v[152:153], v[184:185], v[56:57], v[152:153]  // 000000006948: D3B04098 1E6271B8
	v_pk_fma_f32 v[154:155], v[186:187], v[56:57], v[154:155]  // 000000006950: D3B0409A 1E6A71BA
	v_mul_f32_dpp v56, v23, v18 row_newbcast:2 row_mask:0xf bank_mask:0xf// 000000006958: 0A7024FA FF015217
	v_mov_b32_e32 v57, v56                                     // 000000006960: 7E720338
	v_pk_fma_f32 v[132:133], v[164:165], v[56:57], v[132:133]  // 000000006964: D3B04084 1E1271A4
	v_pk_fma_f32 v[134:135], v[166:167], v[56:57], v[134:135]  // 00000000696C: D3B04086 1E1A71A6
	v_pk_fma_f32 v[140:141], v[172:173], v[56:57], v[140:141]  // 000000006974: D3B0408C 1E3271AC
	v_pk_fma_f32 v[142:143], v[174:175], v[56:57], v[142:143]  // 00000000697C: D3B0408E 1E3A71AE
	v_mul_f32_dpp v56, v23, v18 row_newbcast:3 row_mask:0xf bank_mask:0xf// 000000006984: 0A7024FA FF015317
	v_mov_b32_e32 v57, v56                                     // 00000000698C: 7E720338
	v_pk_fma_f32 v[148:149], v[180:181], v[56:57], v[148:149]  // 000000006990: D3B04094 1E5271B4
	v_pk_fma_f32 v[150:151], v[182:183], v[56:57], v[150:151]  // 000000006998: D3B04096 1E5A71B6
	v_pk_fma_f32 v[156:157], v[188:189], v[56:57], v[156:157]  // 0000000069A0: D3B0409C 1E7271BC
	v_pk_fma_f32 v[158:159], v[190:191], v[56:57], v[158:159]  // 0000000069A8: D3B0409E 1E7A71BE
	s_add_u32 s60, 0x100, s80                                  // 0000000069B0: 803C50FF 00000100
	s_cmp_lt_u32 s60, s81                                      // 0000000069B8: BF0A513C
	s_cselect_b32 s4, s4, 0                                    // 0000000069BC: 85048004
	s_add_u32 s32, s4, s32                                     // 0000000069C0: 80202004
	s_addc_u32 s33, 0, s33                                     // 0000000069C4: 82212180
	s_waitcnt vmcnt(8)                                         // 0000000069C8: BF8C0F78
	s_barrier                                                  // 0000000069CC: BF8A0000
	v_mfma_f32_16x16x32_fp8_fp8 v[96:99], a[64:65], v[192:193], 0// 0000000069D0: D3F30060 0A038140
	buffer_load_dwordx4 a[0:3], v44, s[24:27], 0 offen         // 0000000069D8: E05C1000 8086002C
	v_mfma_f32_16x16x32_fp8_fp8 v[96:99], a[66:67], v[194:195], v[96:99]// 0000000069E0: D3F30060 0D838542
	v_mfma_f32_16x16x32_fp8_fp8 v[96:99], a[68:69], v[196:197], v[96:99]// 0000000069E8: D3F30060 0D838944
	buffer_load_dword v23, v11, s[32:35], 0 offen              // 0000000069F0: E0501000 8008170B
	v_mfma_f32_16x16x32_fp8_fp8 v[96:99], a[70:71], v[198:199], v[96:99]// 0000000069F8: D3F30060 0D838D46
	v_mfma_f32_16x16x32_fp8_fp8 v[100:103], a[64:65], v[208:209], 0// 000000006A00: D3F30064 0A03A140
	buffer_load_dwordx4 a[4:7], v44, s[24:27], 0 offen offset:1024// 000000006A08: E05C1400 8086042C
	v_mfma_f32_16x16x32_fp8_fp8 v[100:103], a[66:67], v[210:211], v[100:103]// 000000006A10: D3F30064 0D93A542
	v_mfma_f32_16x16x32_fp8_fp8 v[100:103], a[68:69], v[212:213], v[100:103]// 000000006A18: D3F30064 0D93A944
	v_mfma_f32_16x16x32_fp8_fp8 v[100:103], a[70:71], v[214:215], v[100:103]// 000000006A20: D3F30064 0D93AD46
	v_mfma_f32_16x16x32_fp8_fp8 v[104:107], a[80:81], v[192:193], 0// 000000006A28: D3F30068 0A038150
	buffer_load_dwordx4 a[16:19], v45, s[24:27], 0 offen       // 000000006A30: E05C1000 8086102D
	v_mfma_f32_16x16x32_fp8_fp8 v[104:107], a[82:83], v[194:195], v[104:107]// 000000006A38: D3F30068 0DA38552
	v_mfma_f32_16x16x32_fp8_fp8 v[104:107], a[84:85], v[196:197], v[104:107]// 000000006A40: D3F30068 0DA38954
	v_mfma_f32_16x16x32_fp8_fp8 v[104:107], a[86:87], v[198:199], v[104:107]// 000000006A48: D3F30068 0DA38D56
	v_mfma_f32_16x16x32_fp8_fp8 v[108:111], a[80:81], v[208:209], 0// 000000006A50: D3F3006C 0A03A150
	buffer_load_dwordx4 a[20:23], v45, s[24:27], 0 offen offset:1024// 000000006A58: E05C1400 8086142D
	v_mfma_f32_16x16x32_fp8_fp8 v[108:111], a[82:83], v[210:211], v[108:111]// 000000006A60: D3F3006C 0DB3A552
	v_mfma_f32_16x16x32_fp8_fp8 v[108:111], a[84:85], v[212:213], v[108:111]// 000000006A68: D3F3006C 0DB3A954
	v_mfma_f32_16x16x32_fp8_fp8 v[108:111], a[86:87], v[214:215], v[108:111]// 000000006A70: D3F3006C 0DB3AD56
	v_mfma_f32_16x16x32_fp8_fp8 v[112:115], a[96:97], v[192:193], 0// 000000006A78: D3F30070 0A038160
	buffer_load_dwordx4 a[32:35], v46, s[24:27], 0 offen       // 000000006A80: E05C1000 8086202E
	v_mfma_f32_16x16x32_fp8_fp8 v[112:115], a[98:99], v[194:195], v[112:115]// 000000006A88: D3F30070 0DC38562
	v_mfma_f32_16x16x32_fp8_fp8 v[112:115], a[100:101], v[196:197], v[112:115]// 000000006A90: D3F30070 0DC38964
	v_mfma_f32_16x16x32_fp8_fp8 v[112:115], a[102:103], v[198:199], v[112:115]// 000000006A98: D3F30070 0DC38D66
	v_mfma_f32_16x16x32_fp8_fp8 v[116:119], a[96:97], v[208:209], 0// 000000006AA0: D3F30074 0A03A160
	buffer_load_dwordx4 a[36:39], v46, s[24:27], 0 offen offset:1024// 000000006AA8: E05C1400 8086242E
	v_mfma_f32_16x16x32_fp8_fp8 v[116:119], a[98:99], v[210:211], v[116:119]// 000000006AB0: D3F30074 0DD3A562
	v_mfma_f32_16x16x32_fp8_fp8 v[116:119], a[100:101], v[212:213], v[116:119]// 000000006AB8: D3F30074 0DD3A964
	v_mfma_f32_16x16x32_fp8_fp8 v[116:119], a[102:103], v[214:215], v[116:119]// 000000006AC0: D3F30074 0DD3AD66
	v_mfma_f32_16x16x32_fp8_fp8 v[120:123], a[112:113], v[192:193], 0// 000000006AC8: D3F30078 0A038170
	buffer_load_dwordx4 a[48:51], v47, s[24:27], 0 offen       // 000000006AD0: E05C1000 8086302F
	v_mfma_f32_16x16x32_fp8_fp8 v[120:123], a[114:115], v[194:195], v[120:123]// 000000006AD8: D3F30078 0DE38572
	v_mfma_f32_16x16x32_fp8_fp8 v[120:123], a[116:117], v[196:197], v[120:123]// 000000006AE0: D3F30078 0DE38974
	v_mfma_f32_16x16x32_fp8_fp8 v[120:123], a[118:119], v[198:199], v[120:123]// 000000006AE8: D3F30078 0DE38D76
	v_mfma_f32_16x16x32_fp8_fp8 v[124:127], a[112:113], v[208:209], 0// 000000006AF0: D3F3007C 0A03A170
	buffer_load_dwordx4 a[52:55], v47, s[24:27], 0 offen offset:1024// 000000006AF8: E05C1400 8086342F
	v_mfma_f32_16x16x32_fp8_fp8 v[124:127], a[114:115], v[210:211], v[124:127]// 000000006B00: D3F3007C 0DF3A572
	v_mfma_f32_16x16x32_fp8_fp8 v[124:127], a[116:117], v[212:213], v[124:127]// 000000006B08: D3F3007C 0DF3A974
	v_mfma_f32_16x16x32_fp8_fp8 v[124:127], a[118:119], v[214:215], v[124:127]// 000000006B10: D3F3007C 0DF3AD76
	v_mul_f32_dpp v56, v24, v15 row_newbcast:0 row_mask:0xf bank_mask:0xf// 000000006B18: 0A701EFA FF015018
	v_mov_b32_e32 v57, v56                                     // 000000006B20: 7E720338
	v_pk_fma_f32 v[64:65], v[96:97], v[56:57], v[64:65]        // 000000006B24: D3B04040 1D027160
	v_pk_fma_f32 v[66:67], v[98:99], v[56:57], v[66:67]        // 000000006B2C: D3B04042 1D0A7162
	v_pk_fma_f32 v[72:73], v[104:105], v[56:57], v[72:73]      // 000000006B34: D3B04048 1D227168
	v_pk_fma_f32 v[74:75], v[106:107], v[56:57], v[74:75]      // 000000006B3C: D3B0404A 1D2A716A
	v_mul_f32_dpp v56, v24, v15 row_newbcast:1 row_mask:0xf bank_mask:0xf// 000000006B44: 0A701EFA FF015118
	v_mov_b32_e32 v57, v56                                     // 000000006B4C: 7E720338
	v_pk_fma_f32 v[80:81], v[112:113], v[56:57], v[80:81]      // 000000006B50: D3B04050 1D427170
	v_pk_fma_f32 v[82:83], v[114:115], v[56:57], v[82:83]      // 000000006B58: D3B04052 1D4A7172
	v_pk_fma_f32 v[88:89], v[120:121], v[56:57], v[88:89]      // 000000006B60: D3B04058 1D627178
	v_pk_fma_f32 v[90:91], v[122:123], v[56:57], v[90:91]      // 000000006B68: D3B0405A 1D6A717A
	v_mul_f32_dpp v56, v24, v16 row_newbcast:0 row_mask:0xf bank_mask:0xf// 000000006B70: 0A7020FA FF015018
	v_mov_b32_e32 v57, v56                                     // 000000006B78: 7E720338
	v_pk_fma_f32 v[68:69], v[100:101], v[56:57], v[68:69]      // 000000006B7C: D3B04044 1D127164
	v_pk_fma_f32 v[70:71], v[102:103], v[56:57], v[70:71]      // 000000006B84: D3B04046 1D1A7166
	v_pk_fma_f32 v[76:77], v[108:109], v[56:57], v[76:77]      // 000000006B8C: D3B0404C 1D32716C
	v_pk_fma_f32 v[78:79], v[110:111], v[56:57], v[78:79]      // 000000006B94: D3B0404E 1D3A716E
	v_mul_f32_dpp v56, v24, v16 row_newbcast:1 row_mask:0xf bank_mask:0xf// 000000006B9C: 0A7020FA FF015118
	v_mov_b32_e32 v57, v56                                     // 000000006BA4: 7E720338
	v_pk_fma_f32 v[84:85], v[116:117], v[56:57], v[84:85]      // 000000006BA8: D3B04054 1D527174
	v_pk_fma_f32 v[86:87], v[118:119], v[56:57], v[86:87]      // 000000006BB0: D3B04056 1D5A7176
	v_pk_fma_f32 v[92:93], v[124:125], v[56:57], v[92:93]      // 000000006BB8: D3B0405C 1D72717C
	v_pk_fma_f32 v[94:95], v[126:127], v[56:57], v[94:95]      // 000000006BC0: D3B0405E 1D7A717E
	s_waitcnt vmcnt(13)                                        // 000000006BC8: BF8C0F7D
	v_mfma_f32_16x16x32_fp8_fp8 v[96:99], a[72:73], v[200:201], 0// 000000006BCC: D3F30060 0A039148
	buffer_load_dwordx4 a[8:11], v44, s[24:27], 0 offen offset:2048// 000000006BD4: E05C1800 8086082C
	v_mfma_f32_16x16x32_fp8_fp8 v[96:99], a[74:75], v[202:203], v[96:99]// 000000006BDC: D3F30060 0D83954A
	v_mfma_f32_16x16x32_fp8_fp8 v[96:99], a[76:77], v[204:205], v[96:99]// 000000006BE4: D3F30060 0D83994C
	ds_read_b128 v[224:227], v2 offset:9344                    // 000000006BEC: D9FE2480 E0000002
	ds_read_b32 v19, v3 offset:17664                           // 000000006BF4: D86C4500 13000003
	v_mfma_f32_16x16x32_fp8_fp8 v[96:99], a[78:79], v[206:207], v[96:99]// 000000006BFC: D3F30060 0D839D4E
	v_mfma_f32_16x16x32_fp8_fp8 v[100:103], a[72:73], v[216:217], 0// 000000006C04: D3F30064 0A03B148
	buffer_load_dwordx4 a[12:15], v44, s[24:27], 0 offen offset:3072// 000000006C0C: E05C1C00 80860C2C
	v_mfma_f32_16x16x32_fp8_fp8 v[100:103], a[74:75], v[218:219], v[100:103]// 000000006C14: D3F30064 0D93B54A
	v_mfma_f32_16x16x32_fp8_fp8 v[100:103], a[76:77], v[220:221], v[100:103]// 000000006C1C: D3F30064 0D93B94C
	ds_read_b128 v[228:231], v2 offset:9408                    // 000000006C24: D9FE24C0 E4000002
	ds_read_b32 v20, v3 offset:17920                           // 000000006C2C: D86C4600 14000003
	v_mfma_f32_16x16x32_fp8_fp8 v[100:103], a[78:79], v[222:223], v[100:103]// 000000006C34: D3F30064 0D93BD4E
	v_mfma_f32_16x16x32_fp8_fp8 v[104:107], a[88:89], v[200:201], 0// 000000006C3C: D3F30068 0A039158
	buffer_load_dwordx4 a[24:27], v45, s[24:27], 0 offen offset:2048// 000000006C44: E05C1800 8086182D
	v_mfma_f32_16x16x32_fp8_fp8 v[104:107], a[90:91], v[202:203], v[104:107]// 000000006C4C: D3F30068 0DA3955A
	v_mfma_f32_16x16x32_fp8_fp8 v[104:107], a[92:93], v[204:205], v[104:107]// 000000006C54: D3F30068 0DA3995C
	ds_read_b128 v[232:235], v2 offset:9472                    // 000000006C5C: D9FE2500 E8000002
	ds_read_b32 v21, v3 offset:18176                           // 000000006C64: D86C4700 15000003
	v_mfma_f32_16x16x32_fp8_fp8 v[104:107], a[94:95], v[206:207], v[104:107]// 000000006C6C: D3F30068 0DA39D5E
	v_mfma_f32_16x16x32_fp8_fp8 v[108:111], a[88:89], v[216:217], 0// 000000006C74: D3F3006C 0A03B158
	buffer_load_dwordx4 a[28:31], v45, s[24:27], 0 offen offset:3072// 000000006C7C: E05C1C00 80861C2D
	v_mfma_f32_16x16x32_fp8_fp8 v[108:111], a[90:91], v[218:219], v[108:111]// 000000006C84: D3F3006C 0DB3B55A
	v_mfma_f32_16x16x32_fp8_fp8 v[108:111], a[92:93], v[220:221], v[108:111]// 000000006C8C: D3F3006C 0DB3B95C
	ds_read_b128 v[236:239], v2 offset:9536                    // 000000006C94: D9FE2540 EC000002
	ds_read_b32 v22, v3 offset:18432                           // 000000006C9C: D86C4800 16000003
	v_mfma_f32_16x16x32_fp8_fp8 v[108:111], a[94:95], v[222:223], v[108:111]// 000000006CA4: D3F3006C 0DB3BD5E
	s_waitcnt vmcnt(13)                                        // 000000006CAC: BF8C0F7D
	v_mfma_f32_16x16x32_fp8_fp8 v[112:115], a[104:105], v[200:201], 0// 000000006CB0: D3F30070 0A039168
	buffer_load_dwordx4 a[40:43], v46, s[24:27], 0 offen offset:2048// 000000006CB8: E05C1800 8086282E
	v_mfma_f32_16x16x32_fp8_fp8 v[112:115], a[106:107], v[202:203], v[112:115]// 000000006CC0: D3F30070 0DC3956A
	v_mfma_f32_16x16x32_fp8_fp8 v[112:115], a[108:109], v[204:205], v[112:115]// 000000006CC8: D3F30070 0DC3996C
	ds_read_b128 v[240:243], v2 offset:10368                   // 000000006CD0: D9FE2880 F0000002
	v_mfma_f32_16x16x32_fp8_fp8 v[112:115], a[110:111], v[206:207], v[112:115]// 000000006CD8: D3F30070 0DC39D6E
	v_mfma_f32_16x16x32_fp8_fp8 v[116:119], a[104:105], v[216:217], 0// 000000006CE0: D3F30074 0A03B168
	buffer_load_dwordx4 a[44:47], v46, s[24:27], 0 offen offset:3072// 000000006CE8: E05C1C00 80862C2E
	v_mfma_f32_16x16x32_fp8_fp8 v[116:119], a[106:107], v[218:219], v[116:119]// 000000006CF0: D3F30074 0DD3B56A
	v_mfma_f32_16x16x32_fp8_fp8 v[116:119], a[108:109], v[220:221], v[116:119]// 000000006CF8: D3F30074 0DD3B96C
	ds_read_b128 v[244:247], v2 offset:10432                   // 000000006D00: D9FE28C0 F4000002
	v_mfma_f32_16x16x32_fp8_fp8 v[116:119], a[110:111], v[222:223], v[116:119]// 000000006D08: D3F30074 0DD3BD6E
	v_mfma_f32_16x16x32_fp8_fp8 v[120:123], a[120:121], v[200:201], 0// 000000006D10: D3F30078 0A039178
	buffer_load_dwordx4 a[56:59], v47, s[24:27], 0 offen offset:2048// 000000006D18: E05C1800 8086382F
	v_mfma_f32_16x16x32_fp8_fp8 v[120:123], a[122:123], v[202:203], v[120:123]// 000000006D20: D3F30078 0DE3957A
	v_mfma_f32_16x16x32_fp8_fp8 v[120:123], a[124:125], v[204:205], v[120:123]// 000000006D28: D3F30078 0DE3997C
	ds_read_b128 v[248:251], v2 offset:10496                   // 000000006D30: D9FE2900 F8000002
	v_mfma_f32_16x16x32_fp8_fp8 v[120:123], a[126:127], v[206:207], v[120:123]// 000000006D38: D3F30078 0DE39D7E
	v_mfma_f32_16x16x32_fp8_fp8 v[124:127], a[120:121], v[216:217], 0// 000000006D40: D3F3007C 0A03B178
	buffer_load_dwordx4 a[60:63], v47, s[24:27], 0 offen offset:3072// 000000006D48: E05C1C00 80863C2F
	v_mfma_f32_16x16x32_fp8_fp8 v[124:127], a[122:123], v[218:219], v[124:127]// 000000006D50: D3F3007C 0DF3B57A
	v_mfma_f32_16x16x32_fp8_fp8 v[124:127], a[124:125], v[220:221], v[124:127]// 000000006D58: D3F3007C 0DF3B97C
	ds_read_b128 v[252:255], v2 offset:10560                   // 000000006D60: D9FE2940 FC000002
	v_mfma_f32_16x16x32_fp8_fp8 v[124:127], a[126:127], v[222:223], v[124:127]// 000000006D68: D3F3007C 0DF3BD7E
	v_mul_f32_dpp v56, v24, v17 row_newbcast:2 row_mask:0xf bank_mask:0xf// 000000006D70: 0A7022FA FF015218
	v_mov_b32_e32 v57, v56                                     // 000000006D78: 7E720338
	v_pk_fma_f32 v[64:65], v[96:97], v[56:57], v[64:65]        // 000000006D7C: D3B04040 1D027160
	v_pk_fma_f32 v[66:67], v[98:99], v[56:57], v[66:67]        // 000000006D84: D3B04042 1D0A7162
	v_pk_fma_f32 v[72:73], v[104:105], v[56:57], v[72:73]      // 000000006D8C: D3B04048 1D227168
	v_pk_fma_f32 v[74:75], v[106:107], v[56:57], v[74:75]      // 000000006D94: D3B0404A 1D2A716A
	v_mul_f32_dpp v56, v24, v17 row_newbcast:3 row_mask:0xf bank_mask:0xf// 000000006D9C: 0A7022FA FF015318
	v_mov_b32_e32 v57, v56                                     // 000000006DA4: 7E720338
	v_pk_fma_f32 v[80:81], v[112:113], v[56:57], v[80:81]      // 000000006DA8: D3B04050 1D427170
	v_pk_fma_f32 v[82:83], v[114:115], v[56:57], v[82:83]      // 000000006DB0: D3B04052 1D4A7172
	v_pk_fma_f32 v[88:89], v[120:121], v[56:57], v[88:89]      // 000000006DB8: D3B04058 1D627178
	v_pk_fma_f32 v[90:91], v[122:123], v[56:57], v[90:91]      // 000000006DC0: D3B0405A 1D6A717A
	v_mul_f32_dpp v56, v24, v18 row_newbcast:2 row_mask:0xf bank_mask:0xf// 000000006DC8: 0A7024FA FF015218
	v_mov_b32_e32 v57, v56                                     // 000000006DD0: 7E720338
	v_pk_fma_f32 v[68:69], v[100:101], v[56:57], v[68:69]      // 000000006DD4: D3B04044 1D127164
	v_pk_fma_f32 v[70:71], v[102:103], v[56:57], v[70:71]      // 000000006DDC: D3B04046 1D1A7166
	v_pk_fma_f32 v[76:77], v[108:109], v[56:57], v[76:77]      // 000000006DE4: D3B0404C 1D32716C
	v_pk_fma_f32 v[78:79], v[110:111], v[56:57], v[78:79]      // 000000006DEC: D3B0404E 1D3A716E
	v_mul_f32_dpp v56, v24, v18 row_newbcast:3 row_mask:0xf bank_mask:0xf// 000000006DF4: 0A7024FA FF015318
	v_mov_b32_e32 v57, v56                                     // 000000006DFC: 7E720338
	v_pk_fma_f32 v[84:85], v[116:117], v[56:57], v[84:85]      // 000000006E00: D3B04054 1D527174
	v_pk_fma_f32 v[86:87], v[118:119], v[56:57], v[86:87]      // 000000006E08: D3B04056 1D5A7176
	v_pk_fma_f32 v[92:93], v[124:125], v[56:57], v[92:93]      // 000000006E10: D3B0405C 1D72717C
	v_pk_fma_f32 v[94:95], v[126:127], v[56:57], v[94:95]      // 000000006E18: D3B0405E 1D7A717E
	s_add_u32 s60, 0x200, s80                                  // 000000006E20: 803C50FF 00000200
	s_cmp_lt_u32 s60, s81                                      // 000000006E28: BF0A513C
	s_cselect_b32 s57, s57, 0                                  // 000000006E2C: 85398039
	s_cselect_b32 s3, s3, 0                                    // 000000006E30: 85038003
	s_add_u32 s60, 0x200, s80                                  // 000000006E34: 803C50FF 00000200
	s_cmp_lt_u32 s60, s81                                      // 000000006E3C: BF0A513C
	s_cselect_b32 s58, s58, 0                                  // 000000006E40: 853A803A
	s_add_u32 s20, s57, s20                                    // 000000006E44: 80141439
	s_addc_u32 s21, 0, s21                                     // 000000006E48: 82151580
	s_add_u32 s28, s3, s28                                     // 000000006E4C: 801C1C03
	s_addc_u32 s29, 0, s29                                     // 000000006E50: 821D1D80
	s_add_u32 s24, s58, s24                                    // 000000006E54: 8018183A
	s_addc_u32 s25, 0, s25                                     // 000000006E58: 82191980
	s_add_u32 s92, s90, s92                                    // 000000006E5C: 805C5C5A
	s_addc_u32 s93, 0, s93                                     // 000000006E60: 825D5D80
	s_addk_i32 s80, 0x100                                      // 000000006E64: B7500100
	s_cmp_lt_i32 s80, s81                                      // 000000006E68: BF045150
	s_cbranch_scc0 label_126D                                  // 000000006E6C: BF840251
	s_waitcnt vmcnt(8) lgkmcnt(0)                              // 000000006E70: BF8C0078
	s_barrier                                                  // 000000006E74: BF8A0000
	v_mfma_f32_16x16x32_fp8_fp8 v[160:163], a[0:1], v[224:225], 0// 000000006E78: D3F300A0 0A03C100
	buffer_load_dwordx4 a[64:67], v44, s[92:95], 0 offen       // 000000006E80: E05C1000 8097402C
	v_mfma_f32_16x16x32_fp8_fp8 v[160:163], a[2:3], v[226:227], v[160:163]// 000000006E88: D3F300A0 0E83C502
	v_mfma_f32_16x16x32_fp8_fp8 v[160:163], a[4:5], v[228:229], v[160:163]// 000000006E90: D3F300A0 0E83C904
	buffer_load_dword v36, s[20:23], 0 offen lds               // 000000006E98: E0511000 80050024
	s_add_u32 m0, 0x100, s50                                   // 000000006EA0: 807C32FF 00000100
	v_mfma_f32_16x16x32_fp8_fp8 v[160:163], a[6:7], v[230:231], v[160:163]// 000000006EA8: D3F300A0 0E83CD06
	v_mfma_f32_16x16x32_fp8_fp8 v[164:167], a[0:1], v[240:241], 0// 000000006EB0: D3F300A4 0A03E100
	buffer_load_dwordx4 a[68:71], v44, s[92:95], 0 offen offset:1024// 000000006EB8: E05C1400 8097442C
	v_mfma_f32_16x16x32_fp8_fp8 v[164:167], a[2:3], v[242:243], v[164:167]// 000000006EC0: D3F300A4 0E93E502
	v_mfma_f32_16x16x32_fp8_fp8 v[164:167], a[4:5], v[244:245], v[164:167]// 000000006EC8: D3F300A4 0E93E904
	buffer_load_dword v37, s[20:23], 0 offen lds               // 000000006ED0: E0511000 80050025
	s_add_u32 m0, 0x200, s50                                   // 000000006ED8: 807C32FF 00000200
	v_mfma_f32_16x16x32_fp8_fp8 v[164:167], a[6:7], v[246:247], v[164:167]// 000000006EE0: D3F300A4 0E93ED06
	v_mfma_f32_16x16x32_fp8_fp8 v[168:171], a[16:17], v[224:225], 0// 000000006EE8: D3F300A8 0A03C110
	buffer_load_dwordx4 a[80:83], v45, s[92:95], 0 offen       // 000000006EF0: E05C1000 8097502D
	v_mfma_f32_16x16x32_fp8_fp8 v[168:171], a[18:19], v[226:227], v[168:171]// 000000006EF8: D3F300A8 0EA3C512
	v_mfma_f32_16x16x32_fp8_fp8 v[168:171], a[20:21], v[228:229], v[168:171]// 000000006F00: D3F300A8 0EA3C914
	buffer_load_dword v38, s[20:23], 0 offen lds               // 000000006F08: E0511000 80050026
	s_add_u32 m0, 0x300, s50                                   // 000000006F10: 807C32FF 00000300
	v_mfma_f32_16x16x32_fp8_fp8 v[168:171], a[22:23], v[230:231], v[168:171]// 000000006F18: D3F300A8 0EA3CD16
	v_mfma_f32_16x16x32_fp8_fp8 v[172:175], a[16:17], v[240:241], 0// 000000006F20: D3F300AC 0A03E110
	buffer_load_dwordx4 a[84:87], v45, s[92:95], 0 offen offset:1024// 000000006F28: E05C1400 8097542D
	v_mfma_f32_16x16x32_fp8_fp8 v[172:175], a[18:19], v[242:243], v[172:175]// 000000006F30: D3F300AC 0EB3E512
	v_mfma_f32_16x16x32_fp8_fp8 v[172:175], a[20:21], v[244:245], v[172:175]// 000000006F38: D3F300AC 0EB3E914
	buffer_load_dword v39, s[20:23], 0 offen lds               // 000000006F40: E0511000 80050027
	s_add_u32 m0, 0x400, s50                                   // 000000006F48: 807C32FF 00000400
	v_mfma_f32_16x16x32_fp8_fp8 v[172:175], a[22:23], v[246:247], v[172:175]// 000000006F50: D3F300AC 0EB3ED16
	v_mfma_f32_16x16x32_fp8_fp8 v[176:179], a[32:33], v[224:225], 0// 000000006F58: D3F300B0 0A03C120
	buffer_load_dwordx4 a[96:99], v46, s[92:95], 0 offen       // 000000006F60: E05C1000 8097602E
	v_mfma_f32_16x16x32_fp8_fp8 v[176:179], a[34:35], v[226:227], v[176:179]// 000000006F68: D3F300B0 0EC3C522
	v_mfma_f32_16x16x32_fp8_fp8 v[176:179], a[36:37], v[228:229], v[176:179]// 000000006F70: D3F300B0 0EC3C924
	buffer_load_dword v40, s[20:23], 0 offen lds               // 000000006F78: E0511000 80050028
	s_add_u32 m0, 0x500, s50                                   // 000000006F80: 807C32FF 00000500
	v_mfma_f32_16x16x32_fp8_fp8 v[176:179], a[38:39], v[230:231], v[176:179]// 000000006F88: D3F300B0 0EC3CD26
	v_mfma_f32_16x16x32_fp8_fp8 v[180:183], a[32:33], v[240:241], 0// 000000006F90: D3F300B4 0A03E120
	buffer_load_dwordx4 a[100:103], v46, s[92:95], 0 offen offset:1024// 000000006F98: E05C1400 8097642E
	v_mfma_f32_16x16x32_fp8_fp8 v[180:183], a[34:35], v[242:243], v[180:183]// 000000006FA0: D3F300B4 0ED3E522
	v_mfma_f32_16x16x32_fp8_fp8 v[180:183], a[36:37], v[244:245], v[180:183]// 000000006FA8: D3F300B4 0ED3E924
	buffer_load_dword v41, s[20:23], 0 offen lds               // 000000006FB0: E0511000 80050029
	s_add_u32 m0, 0x600, s50                                   // 000000006FB8: 807C32FF 00000600
	v_mfma_f32_16x16x32_fp8_fp8 v[180:183], a[38:39], v[246:247], v[180:183]// 000000006FC0: D3F300B4 0ED3ED26
	v_mfma_f32_16x16x32_fp8_fp8 v[184:187], a[48:49], v[224:225], 0// 000000006FC8: D3F300B8 0A03C130
	buffer_load_dwordx4 a[112:115], v47, s[92:95], 0 offen     // 000000006FD0: E05C1000 8097702F
	v_mfma_f32_16x16x32_fp8_fp8 v[184:187], a[50:51], v[226:227], v[184:187]// 000000006FD8: D3F300B8 0EE3C532
	v_mfma_f32_16x16x32_fp8_fp8 v[184:187], a[52:53], v[228:229], v[184:187]// 000000006FE0: D3F300B8 0EE3C934
	buffer_load_dword v42, s[20:23], 0 offen lds               // 000000006FE8: E0511000 8005002A
	s_add_u32 m0, 0x700, s50                                   // 000000006FF0: 807C32FF 00000700
	v_mfma_f32_16x16x32_fp8_fp8 v[184:187], a[54:55], v[230:231], v[184:187]// 000000006FF8: D3F300B8 0EE3CD36
	v_mfma_f32_16x16x32_fp8_fp8 v[188:191], a[48:49], v[240:241], 0// 000000007000: D3F300BC 0A03E130
	buffer_load_dwordx4 a[116:119], v47, s[92:95], 0 offen offset:1024// 000000007008: E05C1400 8097742F
	v_mfma_f32_16x16x32_fp8_fp8 v[188:191], a[50:51], v[242:243], v[188:191]// 000000007010: D3F300BC 0EF3E532
	v_mfma_f32_16x16x32_fp8_fp8 v[188:191], a[52:53], v[244:245], v[188:191]// 000000007018: D3F300BC 0EF3E934
	buffer_load_dword v43, s[20:23], 0 offen lds               // 000000007020: E0511000 8005002B
	s_add_u32 m0, s50, s76                                     // 000000007028: 807C4C32
	v_mfma_f32_16x16x32_fp8_fp8 v[188:191], a[54:55], v[246:247], v[188:191]// 00000000702C: D3F300BC 0EF3ED36
	buffer_load_dword v7, s[28:31], 0 offen lds                // 000000007034: E0511000 80070007
	s_add_u32 m0, 0, s51                                       // 00000000703C: 807C3380
	buffer_load_dword v24, v13, s[32:35], 0 offen              // 000000007040: E0501000 8008180D
	v_mul_f32_dpp v56, v23, v19 row_newbcast:0 row_mask:0xf bank_mask:0xf// 000000007048: 0A7026FA FF015017
	v_mov_b32_e32 v57, v56                                     // 000000007050: 7E720338
	v_pk_fma_f32 v[128:129], v[160:161], v[56:57], v[128:129]  // 000000007054: D3B04080 1E0271A0
	v_pk_fma_f32 v[130:131], v[162:163], v[56:57], v[130:131]  // 00000000705C: D3B04082 1E0A71A2
	v_pk_fma_f32 v[136:137], v[168:169], v[56:57], v[136:137]  // 000000007064: D3B04088 1E2271A8
	v_pk_fma_f32 v[138:139], v[170:171], v[56:57], v[138:139]  // 00000000706C: D3B0408A 1E2A71AA
	v_mul_f32_dpp v56, v23, v19 row_newbcast:1 row_mask:0xf bank_mask:0xf// 000000007074: 0A7026FA FF015117
	v_mov_b32_e32 v57, v56                                     // 00000000707C: 7E720338
	v_pk_fma_f32 v[144:145], v[176:177], v[56:57], v[144:145]  // 000000007080: D3B04090 1E4271B0
	v_pk_fma_f32 v[146:147], v[178:179], v[56:57], v[146:147]  // 000000007088: D3B04092 1E4A71B2
	v_pk_fma_f32 v[152:153], v[184:185], v[56:57], v[152:153]  // 000000007090: D3B04098 1E6271B8
	v_pk_fma_f32 v[154:155], v[186:187], v[56:57], v[154:155]  // 000000007098: D3B0409A 1E6A71BA
	v_mul_f32_dpp v56, v23, v20 row_newbcast:0 row_mask:0xf bank_mask:0xf// 0000000070A0: 0A7028FA FF015017
	v_mov_b32_e32 v57, v56                                     // 0000000070A8: 7E720338
	v_pk_fma_f32 v[132:133], v[164:165], v[56:57], v[132:133]  // 0000000070AC: D3B04084 1E1271A4
	v_pk_fma_f32 v[134:135], v[166:167], v[56:57], v[134:135]  // 0000000070B4: D3B04086 1E1A71A6
	v_pk_fma_f32 v[140:141], v[172:173], v[56:57], v[140:141]  // 0000000070BC: D3B0408C 1E3271AC
	v_pk_fma_f32 v[142:143], v[174:175], v[56:57], v[142:143]  // 0000000070C4: D3B0408E 1E3A71AE
	v_mul_f32_dpp v56, v23, v20 row_newbcast:1 row_mask:0xf bank_mask:0xf// 0000000070CC: 0A7028FA FF015117
	v_mov_b32_e32 v57, v56                                     // 0000000070D4: 7E720338
	v_pk_fma_f32 v[148:149], v[180:181], v[56:57], v[148:149]  // 0000000070D8: D3B04094 1E5271B4
	v_pk_fma_f32 v[150:151], v[182:183], v[56:57], v[150:151]  // 0000000070E0: D3B04096 1E5A71B6
	v_pk_fma_f32 v[156:157], v[188:189], v[56:57], v[156:157]  // 0000000070E8: D3B0409C 1E7271BC
	v_pk_fma_f32 v[158:159], v[190:191], v[56:57], v[158:159]  // 0000000070F0: D3B0409E 1E7A71BE
	s_waitcnt vmcnt(22)                                        // 0000000070F8: BF8C4F76
	v_mfma_f32_16x16x32_fp8_fp8 v[160:163], a[8:9], v[232:233], 0// 0000000070FC: D3F300A0 0A03D108
	buffer_load_dwordx4 a[72:75], v44, s[92:95], 0 offen offset:2048// 000000007104: E05C1800 8097482C
	v_mfma_f32_16x16x32_fp8_fp8 v[160:163], a[10:11], v[234:235], v[160:163]// 00000000710C: D3F300A0 0E83D50A
	v_mfma_f32_16x16x32_fp8_fp8 v[160:163], a[12:13], v[236:237], v[160:163]// 000000007114: D3F300A0 0E83D90C
	v_mfma_f32_16x16x32_fp8_fp8 v[160:163], a[14:15], v[238:239], v[160:163]// 00000000711C: D3F300A0 0E83DD0E
	v_mfma_f32_16x16x32_fp8_fp8 v[164:167], a[8:9], v[248:249], 0// 000000007124: D3F300A4 0A03F108
	buffer_load_dwordx4 a[76:79], v44, s[92:95], 0 offen offset:3072// 00000000712C: E05C1C00 80974C2C
	v_mfma_f32_16x16x32_fp8_fp8 v[164:167], a[10:11], v[250:251], v[164:167]// 000000007134: D3F300A4 0E93F50A
	v_mfma_f32_16x16x32_fp8_fp8 v[164:167], a[12:13], v[252:253], v[164:167]// 00000000713C: D3F300A4 0E93F90C
	v_mfma_f32_16x16x32_fp8_fp8 v[164:167], a[14:15], v[254:255], v[164:167]// 000000007144: D3F300A4 0E93FD0E
	v_mfma_f32_16x16x32_fp8_fp8 v[168:171], a[24:25], v[232:233], 0// 00000000714C: D3F300A8 0A03D118
	buffer_load_dwordx4 a[88:91], v45, s[92:95], 0 offen offset:2048// 000000007154: E05C1800 8097582D
	v_mfma_f32_16x16x32_fp8_fp8 v[168:171], a[26:27], v[234:235], v[168:171]// 00000000715C: D3F300A8 0EA3D51A
	v_mfma_f32_16x16x32_fp8_fp8 v[168:171], a[28:29], v[236:237], v[168:171]// 000000007164: D3F300A8 0EA3D91C
	v_mfma_f32_16x16x32_fp8_fp8 v[168:171], a[30:31], v[238:239], v[168:171]// 00000000716C: D3F300A8 0EA3DD1E
	v_mfma_f32_16x16x32_fp8_fp8 v[172:175], a[24:25], v[248:249], 0// 000000007174: D3F300AC 0A03F118
	buffer_load_dwordx4 a[92:95], v45, s[92:95], 0 offen offset:3072// 00000000717C: E05C1C00 80975C2D
	v_mfma_f32_16x16x32_fp8_fp8 v[172:175], a[26:27], v[250:251], v[172:175]// 000000007184: D3F300AC 0EB3F51A
	v_mfma_f32_16x16x32_fp8_fp8 v[172:175], a[28:29], v[252:253], v[172:175]// 00000000718C: D3F300AC 0EB3F91C
	v_mfma_f32_16x16x32_fp8_fp8 v[172:175], a[30:31], v[254:255], v[172:175]// 000000007194: D3F300AC 0EB3FD1E
	s_waitcnt vmcnt(22)                                        // 00000000719C: BF8C4F76
	v_mfma_f32_16x16x32_fp8_fp8 v[176:179], a[40:41], v[232:233], 0// 0000000071A0: D3F300B0 0A03D128
	buffer_load_dwordx4 a[104:107], v46, s[92:95], 0 offen offset:2048// 0000000071A8: E05C1800 8097682E
	v_mfma_f32_16x16x32_fp8_fp8 v[176:179], a[42:43], v[234:235], v[176:179]// 0000000071B0: D3F300B0 0EC3D52A
	v_mfma_f32_16x16x32_fp8_fp8 v[176:179], a[44:45], v[236:237], v[176:179]// 0000000071B8: D3F300B0 0EC3D92C
	v_mfma_f32_16x16x32_fp8_fp8 v[176:179], a[46:47], v[238:239], v[176:179]// 0000000071C0: D3F300B0 0EC3DD2E
	v_mfma_f32_16x16x32_fp8_fp8 v[180:183], a[40:41], v[248:249], 0// 0000000071C8: D3F300B4 0A03F128
	buffer_load_dwordx4 a[108:111], v46, s[92:95], 0 offen offset:3072// 0000000071D0: E05C1C00 80976C2E
	v_mfma_f32_16x16x32_fp8_fp8 v[180:183], a[42:43], v[250:251], v[180:183]// 0000000071D8: D3F300B4 0ED3F52A
	v_mfma_f32_16x16x32_fp8_fp8 v[180:183], a[44:45], v[252:253], v[180:183]// 0000000071E0: D3F300B4 0ED3F92C
	v_mfma_f32_16x16x32_fp8_fp8 v[180:183], a[46:47], v[254:255], v[180:183]// 0000000071E8: D3F300B4 0ED3FD2E
	v_mfma_f32_16x16x32_fp8_fp8 v[184:187], a[56:57], v[232:233], 0// 0000000071F0: D3F300B8 0A03D138
	buffer_load_dwordx4 a[120:123], v47, s[92:95], 0 offen offset:2048// 0000000071F8: E05C1800 8097782F
	v_mfma_f32_16x16x32_fp8_fp8 v[184:187], a[58:59], v[234:235], v[184:187]// 000000007200: D3F300B8 0EE3D53A
	v_mfma_f32_16x16x32_fp8_fp8 v[184:187], a[60:61], v[236:237], v[184:187]// 000000007208: D3F300B8 0EE3D93C
	v_mfma_f32_16x16x32_fp8_fp8 v[184:187], a[62:63], v[238:239], v[184:187]// 000000007210: D3F300B8 0EE3DD3E
	v_mfma_f32_16x16x32_fp8_fp8 v[188:191], a[56:57], v[248:249], 0// 000000007218: D3F300BC 0A03F138
	buffer_load_dwordx4 a[124:127], v47, s[92:95], 0 offen offset:3072// 000000007220: E05C1C00 80977C2F
	v_mfma_f32_16x16x32_fp8_fp8 v[188:191], a[58:59], v[250:251], v[188:191]// 000000007228: D3F300BC 0EF3F53A
	v_mfma_f32_16x16x32_fp8_fp8 v[188:191], a[60:61], v[252:253], v[188:191]// 000000007230: D3F300BC 0EF3F93C
	v_mfma_f32_16x16x32_fp8_fp8 v[188:191], a[62:63], v[254:255], v[188:191]// 000000007238: D3F300BC 0EF3FD3E
	v_mul_f32_dpp v56, v23, v21 row_newbcast:2 row_mask:0xf bank_mask:0xf// 000000007240: 0A702AFA FF015217
	v_mov_b32_e32 v57, v56                                     // 000000007248: 7E720338
	v_pk_fma_f32 v[128:129], v[160:161], v[56:57], v[128:129]  // 00000000724C: D3B04080 1E0271A0
	v_pk_fma_f32 v[130:131], v[162:163], v[56:57], v[130:131]  // 000000007254: D3B04082 1E0A71A2
	v_pk_fma_f32 v[136:137], v[168:169], v[56:57], v[136:137]  // 00000000725C: D3B04088 1E2271A8
	v_pk_fma_f32 v[138:139], v[170:171], v[56:57], v[138:139]  // 000000007264: D3B0408A 1E2A71AA
	v_mul_f32_dpp v56, v23, v21 row_newbcast:3 row_mask:0xf bank_mask:0xf// 00000000726C: 0A702AFA FF015317
	v_mov_b32_e32 v57, v56                                     // 000000007274: 7E720338
	v_pk_fma_f32 v[144:145], v[176:177], v[56:57], v[144:145]  // 000000007278: D3B04090 1E4271B0
	v_pk_fma_f32 v[146:147], v[178:179], v[56:57], v[146:147]  // 000000007280: D3B04092 1E4A71B2
	v_pk_fma_f32 v[152:153], v[184:185], v[56:57], v[152:153]  // 000000007288: D3B04098 1E6271B8
	v_pk_fma_f32 v[154:155], v[186:187], v[56:57], v[154:155]  // 000000007290: D3B0409A 1E6A71BA
	v_mul_f32_dpp v56, v23, v22 row_newbcast:2 row_mask:0xf bank_mask:0xf// 000000007298: 0A702CFA FF015217
	v_mov_b32_e32 v57, v56                                     // 0000000072A0: 7E720338
	v_pk_fma_f32 v[132:133], v[164:165], v[56:57], v[132:133]  // 0000000072A4: D3B04084 1E1271A4
	v_pk_fma_f32 v[134:135], v[166:167], v[56:57], v[134:135]  // 0000000072AC: D3B04086 1E1A71A6
	v_pk_fma_f32 v[140:141], v[172:173], v[56:57], v[140:141]  // 0000000072B4: D3B0408C 1E3271AC
	v_pk_fma_f32 v[142:143], v[174:175], v[56:57], v[142:143]  // 0000000072BC: D3B0408E 1E3A71AE
	v_mul_f32_dpp v56, v23, v22 row_newbcast:3 row_mask:0xf bank_mask:0xf// 0000000072C4: 0A702CFA FF015317
	v_mov_b32_e32 v57, v56                                     // 0000000072CC: 7E720338
	v_pk_fma_f32 v[148:149], v[180:181], v[56:57], v[148:149]  // 0000000072D0: D3B04094 1E5271B4
	v_pk_fma_f32 v[150:151], v[182:183], v[56:57], v[150:151]  // 0000000072D8: D3B04096 1E5A71B6
	v_pk_fma_f32 v[156:157], v[188:189], v[56:57], v[156:157]  // 0000000072E0: D3B0409C 1E7271BC
	v_pk_fma_f32 v[158:159], v[190:191], v[56:57], v[158:159]  // 0000000072E8: D3B0409E 1E7A71BE
	s_add_u32 s60, 0x100, s80                                  // 0000000072F0: 803C50FF 00000100
	s_cmp_lt_u32 s60, s81                                      // 0000000072F8: BF0A513C
	s_cselect_b32 s4, s4, 0                                    // 0000000072FC: 85048004
	s_add_u32 s32, s4, s32                                     // 000000007300: 80202004
	s_addc_u32 s33, 0, s33                                     // 000000007304: 82212180
	s_waitcnt vmcnt(8)                                         // 000000007308: BF8C0F78
	s_barrier                                                  // 00000000730C: BF8A0000
	v_mfma_f32_16x16x32_fp8_fp8 v[96:99], a[64:65], v[224:225], 0// 000000007310: D3F30060 0A03C140
	buffer_load_dwordx4 a[0:3], v44, s[24:27], 0 offen         // 000000007318: E05C1000 8086002C
	v_mfma_f32_16x16x32_fp8_fp8 v[96:99], a[66:67], v[226:227], v[96:99]// 000000007320: D3F30060 0D83C542
	v_mfma_f32_16x16x32_fp8_fp8 v[96:99], a[68:69], v[228:229], v[96:99]// 000000007328: D3F30060 0D83C944
	buffer_load_dword v23, v11, s[32:35], 0 offen              // 000000007330: E0501000 8008170B
	v_mfma_f32_16x16x32_fp8_fp8 v[96:99], a[70:71], v[230:231], v[96:99]// 000000007338: D3F30060 0D83CD46
	v_mfma_f32_16x16x32_fp8_fp8 v[100:103], a[64:65], v[240:241], 0// 000000007340: D3F30064 0A03E140
	buffer_load_dwordx4 a[4:7], v44, s[24:27], 0 offen offset:1024// 000000007348: E05C1400 8086042C
	v_mfma_f32_16x16x32_fp8_fp8 v[100:103], a[66:67], v[242:243], v[100:103]// 000000007350: D3F30064 0D93E542
	v_mfma_f32_16x16x32_fp8_fp8 v[100:103], a[68:69], v[244:245], v[100:103]// 000000007358: D3F30064 0D93E944
	v_mfma_f32_16x16x32_fp8_fp8 v[100:103], a[70:71], v[246:247], v[100:103]// 000000007360: D3F30064 0D93ED46
	v_mfma_f32_16x16x32_fp8_fp8 v[104:107], a[80:81], v[224:225], 0// 000000007368: D3F30068 0A03C150
	buffer_load_dwordx4 a[16:19], v45, s[24:27], 0 offen       // 000000007370: E05C1000 8086102D
	v_mfma_f32_16x16x32_fp8_fp8 v[104:107], a[82:83], v[226:227], v[104:107]// 000000007378: D3F30068 0DA3C552
	v_mfma_f32_16x16x32_fp8_fp8 v[104:107], a[84:85], v[228:229], v[104:107]// 000000007380: D3F30068 0DA3C954
	v_mfma_f32_16x16x32_fp8_fp8 v[104:107], a[86:87], v[230:231], v[104:107]// 000000007388: D3F30068 0DA3CD56
	v_mfma_f32_16x16x32_fp8_fp8 v[108:111], a[80:81], v[240:241], 0// 000000007390: D3F3006C 0A03E150
	buffer_load_dwordx4 a[20:23], v45, s[24:27], 0 offen offset:1024// 000000007398: E05C1400 8086142D
	v_mfma_f32_16x16x32_fp8_fp8 v[108:111], a[82:83], v[242:243], v[108:111]// 0000000073A0: D3F3006C 0DB3E552
	v_mfma_f32_16x16x32_fp8_fp8 v[108:111], a[84:85], v[244:245], v[108:111]// 0000000073A8: D3F3006C 0DB3E954
	v_mfma_f32_16x16x32_fp8_fp8 v[108:111], a[86:87], v[246:247], v[108:111]// 0000000073B0: D3F3006C 0DB3ED56
	v_mfma_f32_16x16x32_fp8_fp8 v[112:115], a[96:97], v[224:225], 0// 0000000073B8: D3F30070 0A03C160
	buffer_load_dwordx4 a[32:35], v46, s[24:27], 0 offen       // 0000000073C0: E05C1000 8086202E
	v_mfma_f32_16x16x32_fp8_fp8 v[112:115], a[98:99], v[226:227], v[112:115]// 0000000073C8: D3F30070 0DC3C562
	v_mfma_f32_16x16x32_fp8_fp8 v[112:115], a[100:101], v[228:229], v[112:115]// 0000000073D0: D3F30070 0DC3C964
	v_mfma_f32_16x16x32_fp8_fp8 v[112:115], a[102:103], v[230:231], v[112:115]// 0000000073D8: D3F30070 0DC3CD66
	v_mfma_f32_16x16x32_fp8_fp8 v[116:119], a[96:97], v[240:241], 0// 0000000073E0: D3F30074 0A03E160
	buffer_load_dwordx4 a[36:39], v46, s[24:27], 0 offen offset:1024// 0000000073E8: E05C1400 8086242E
	v_mfma_f32_16x16x32_fp8_fp8 v[116:119], a[98:99], v[242:243], v[116:119]// 0000000073F0: D3F30074 0DD3E562
	v_mfma_f32_16x16x32_fp8_fp8 v[116:119], a[100:101], v[244:245], v[116:119]// 0000000073F8: D3F30074 0DD3E964
	v_mfma_f32_16x16x32_fp8_fp8 v[116:119], a[102:103], v[246:247], v[116:119]// 000000007400: D3F30074 0DD3ED66
	v_mfma_f32_16x16x32_fp8_fp8 v[120:123], a[112:113], v[224:225], 0// 000000007408: D3F30078 0A03C170
	buffer_load_dwordx4 a[48:51], v47, s[24:27], 0 offen       // 000000007410: E05C1000 8086302F
	v_mfma_f32_16x16x32_fp8_fp8 v[120:123], a[114:115], v[226:227], v[120:123]// 000000007418: D3F30078 0DE3C572
	v_mfma_f32_16x16x32_fp8_fp8 v[120:123], a[116:117], v[228:229], v[120:123]// 000000007420: D3F30078 0DE3C974
	v_mfma_f32_16x16x32_fp8_fp8 v[120:123], a[118:119], v[230:231], v[120:123]// 000000007428: D3F30078 0DE3CD76
	v_mfma_f32_16x16x32_fp8_fp8 v[124:127], a[112:113], v[240:241], 0// 000000007430: D3F3007C 0A03E170
	buffer_load_dwordx4 a[52:55], v47, s[24:27], 0 offen offset:1024// 000000007438: E05C1400 8086342F
	v_mfma_f32_16x16x32_fp8_fp8 v[124:127], a[114:115], v[242:243], v[124:127]// 000000007440: D3F3007C 0DF3E572
	v_mfma_f32_16x16x32_fp8_fp8 v[124:127], a[116:117], v[244:245], v[124:127]// 000000007448: D3F3007C 0DF3E974
	v_mfma_f32_16x16x32_fp8_fp8 v[124:127], a[118:119], v[246:247], v[124:127]// 000000007450: D3F3007C 0DF3ED76
	v_mul_f32_dpp v56, v24, v19 row_newbcast:0 row_mask:0xf bank_mask:0xf// 000000007458: 0A7026FA FF015018
	v_mov_b32_e32 v57, v56                                     // 000000007460: 7E720338
	v_pk_fma_f32 v[64:65], v[96:97], v[56:57], v[64:65]        // 000000007464: D3B04040 1D027160
	v_pk_fma_f32 v[66:67], v[98:99], v[56:57], v[66:67]        // 00000000746C: D3B04042 1D0A7162
	v_pk_fma_f32 v[72:73], v[104:105], v[56:57], v[72:73]      // 000000007474: D3B04048 1D227168
	v_pk_fma_f32 v[74:75], v[106:107], v[56:57], v[74:75]      // 00000000747C: D3B0404A 1D2A716A
	v_mul_f32_dpp v56, v24, v19 row_newbcast:1 row_mask:0xf bank_mask:0xf// 000000007484: 0A7026FA FF015118
	v_mov_b32_e32 v57, v56                                     // 00000000748C: 7E720338
	v_pk_fma_f32 v[80:81], v[112:113], v[56:57], v[80:81]      // 000000007490: D3B04050 1D427170
	v_pk_fma_f32 v[82:83], v[114:115], v[56:57], v[82:83]      // 000000007498: D3B04052 1D4A7172
	v_pk_fma_f32 v[88:89], v[120:121], v[56:57], v[88:89]      // 0000000074A0: D3B04058 1D627178
	v_pk_fma_f32 v[90:91], v[122:123], v[56:57], v[90:91]      // 0000000074A8: D3B0405A 1D6A717A
	v_mul_f32_dpp v56, v24, v20 row_newbcast:0 row_mask:0xf bank_mask:0xf// 0000000074B0: 0A7028FA FF015018
	v_mov_b32_e32 v57, v56                                     // 0000000074B8: 7E720338
	v_pk_fma_f32 v[68:69], v[100:101], v[56:57], v[68:69]      // 0000000074BC: D3B04044 1D127164
	v_pk_fma_f32 v[70:71], v[102:103], v[56:57], v[70:71]      // 0000000074C4: D3B04046 1D1A7166
	v_pk_fma_f32 v[76:77], v[108:109], v[56:57], v[76:77]      // 0000000074CC: D3B0404C 1D32716C
	v_pk_fma_f32 v[78:79], v[110:111], v[56:57], v[78:79]      // 0000000074D4: D3B0404E 1D3A716E
	v_mul_f32_dpp v56, v24, v20 row_newbcast:1 row_mask:0xf bank_mask:0xf// 0000000074DC: 0A7028FA FF015118
	v_mov_b32_e32 v57, v56                                     // 0000000074E4: 7E720338
	v_pk_fma_f32 v[84:85], v[116:117], v[56:57], v[84:85]      // 0000000074E8: D3B04054 1D527174
	v_pk_fma_f32 v[86:87], v[118:119], v[56:57], v[86:87]      // 0000000074F0: D3B04056 1D5A7176
	v_pk_fma_f32 v[92:93], v[124:125], v[56:57], v[92:93]      // 0000000074F8: D3B0405C 1D72717C
	v_pk_fma_f32 v[94:95], v[126:127], v[56:57], v[94:95]      // 000000007500: D3B0405E 1D7A717E
	s_waitcnt vmcnt(13)                                        // 000000007508: BF8C0F7D
	v_mfma_f32_16x16x32_fp8_fp8 v[96:99], a[72:73], v[232:233], 0// 00000000750C: D3F30060 0A03D148
	buffer_load_dwordx4 a[8:11], v44, s[24:27], 0 offen offset:2048// 000000007514: E05C1800 8086082C
	v_mfma_f32_16x16x32_fp8_fp8 v[96:99], a[74:75], v[234:235], v[96:99]// 00000000751C: D3F30060 0D83D54A
	v_mfma_f32_16x16x32_fp8_fp8 v[96:99], a[76:77], v[236:237], v[96:99]// 000000007524: D3F30060 0D83D94C
	ds_read_b128 v[192:195], v2                                // 00000000752C: D9FE0000 C0000002
	ds_read_b32 v15, v3 offset:8320                            // 000000007534: D86C2080 0F000003
	v_mfma_f32_16x16x32_fp8_fp8 v[96:99], a[78:79], v[238:239], v[96:99]// 00000000753C: D3F30060 0D83DD4E
	v_mfma_f32_16x16x32_fp8_fp8 v[100:103], a[72:73], v[248:249], 0// 000000007544: D3F30064 0A03F148
	buffer_load_dwordx4 a[12:15], v44, s[24:27], 0 offen offset:3072// 00000000754C: E05C1C00 80860C2C
	v_mfma_f32_16x16x32_fp8_fp8 v[100:103], a[74:75], v[250:251], v[100:103]// 000000007554: D3F30064 0D93F54A
	v_mfma_f32_16x16x32_fp8_fp8 v[100:103], a[76:77], v[252:253], v[100:103]// 00000000755C: D3F30064 0D93F94C
	ds_read_b128 v[196:199], v2 offset:64                      // 000000007564: D9FE0040 C4000002
	ds_read_b32 v16, v3 offset:8576                            // 00000000756C: D86C2180 10000003
	v_mfma_f32_16x16x32_fp8_fp8 v[100:103], a[78:79], v[254:255], v[100:103]// 000000007574: D3F30064 0D93FD4E
	v_mfma_f32_16x16x32_fp8_fp8 v[104:107], a[88:89], v[232:233], 0// 00000000757C: D3F30068 0A03D158
	buffer_load_dwordx4 a[24:27], v45, s[24:27], 0 offen offset:2048// 000000007584: E05C1800 8086182D
	v_mfma_f32_16x16x32_fp8_fp8 v[104:107], a[90:91], v[234:235], v[104:107]// 00000000758C: D3F30068 0DA3D55A
	v_mfma_f32_16x16x32_fp8_fp8 v[104:107], a[92:93], v[236:237], v[104:107]// 000000007594: D3F30068 0DA3D95C
	ds_read_b128 v[200:203], v2 offset:128                     // 00000000759C: D9FE0080 C8000002
	ds_read_b32 v17, v3 offset:8832                            // 0000000075A4: D86C2280 11000003
	v_mfma_f32_16x16x32_fp8_fp8 v[104:107], a[94:95], v[238:239], v[104:107]// 0000000075AC: D3F30068 0DA3DD5E
	v_mfma_f32_16x16x32_fp8_fp8 v[108:111], a[88:89], v[248:249], 0// 0000000075B4: D3F3006C 0A03F158
	buffer_load_dwordx4 a[28:31], v45, s[24:27], 0 offen offset:3072// 0000000075BC: E05C1C00 80861C2D
	v_mfma_f32_16x16x32_fp8_fp8 v[108:111], a[90:91], v[250:251], v[108:111]// 0000000075C4: D3F3006C 0DB3F55A
	v_mfma_f32_16x16x32_fp8_fp8 v[108:111], a[92:93], v[252:253], v[108:111]// 0000000075CC: D3F3006C 0DB3F95C
	ds_read_b128 v[204:207], v2 offset:192                     // 0000000075D4: D9FE00C0 CC000002
	ds_read_b32 v18, v3 offset:9088                            // 0000000075DC: D86C2380 12000003
	v_mfma_f32_16x16x32_fp8_fp8 v[108:111], a[94:95], v[254:255], v[108:111]// 0000000075E4: D3F3006C 0DB3FD5E
	s_waitcnt vmcnt(13)                                        // 0000000075EC: BF8C0F7D
	v_mfma_f32_16x16x32_fp8_fp8 v[112:115], a[104:105], v[232:233], 0// 0000000075F0: D3F30070 0A03D168
	buffer_load_dwordx4 a[40:43], v46, s[24:27], 0 offen offset:2048// 0000000075F8: E05C1800 8086282E
	v_mfma_f32_16x16x32_fp8_fp8 v[112:115], a[106:107], v[234:235], v[112:115]// 000000007600: D3F30070 0DC3D56A
	v_mfma_f32_16x16x32_fp8_fp8 v[112:115], a[108:109], v[236:237], v[112:115]// 000000007608: D3F30070 0DC3D96C
	ds_read_b128 v[208:211], v2 offset:1024                    // 000000007610: D9FE0400 D0000002
	v_mfma_f32_16x16x32_fp8_fp8 v[112:115], a[110:111], v[238:239], v[112:115]// 000000007618: D3F30070 0DC3DD6E
	v_mfma_f32_16x16x32_fp8_fp8 v[116:119], a[104:105], v[248:249], 0// 000000007620: D3F30074 0A03F168
	buffer_load_dwordx4 a[44:47], v46, s[24:27], 0 offen offset:3072// 000000007628: E05C1C00 80862C2E
	v_mfma_f32_16x16x32_fp8_fp8 v[116:119], a[106:107], v[250:251], v[116:119]// 000000007630: D3F30074 0DD3F56A
	v_mfma_f32_16x16x32_fp8_fp8 v[116:119], a[108:109], v[252:253], v[116:119]// 000000007638: D3F30074 0DD3F96C
	ds_read_b128 v[212:215], v2 offset:1088                    // 000000007640: D9FE0440 D4000002
	v_mfma_f32_16x16x32_fp8_fp8 v[116:119], a[110:111], v[254:255], v[116:119]// 000000007648: D3F30074 0DD3FD6E
	v_mfma_f32_16x16x32_fp8_fp8 v[120:123], a[120:121], v[232:233], 0// 000000007650: D3F30078 0A03D178
	buffer_load_dwordx4 a[56:59], v47, s[24:27], 0 offen offset:2048// 000000007658: E05C1800 8086382F
	v_mfma_f32_16x16x32_fp8_fp8 v[120:123], a[122:123], v[234:235], v[120:123]// 000000007660: D3F30078 0DE3D57A
	v_mfma_f32_16x16x32_fp8_fp8 v[120:123], a[124:125], v[236:237], v[120:123]// 000000007668: D3F30078 0DE3D97C
	ds_read_b128 v[216:219], v2 offset:1152                    // 000000007670: D9FE0480 D8000002
	v_mfma_f32_16x16x32_fp8_fp8 v[120:123], a[126:127], v[238:239], v[120:123]// 000000007678: D3F30078 0DE3DD7E
	v_mfma_f32_16x16x32_fp8_fp8 v[124:127], a[120:121], v[248:249], 0// 000000007680: D3F3007C 0A03F178
	buffer_load_dwordx4 a[60:63], v47, s[24:27], 0 offen offset:3072// 000000007688: E05C1C00 80863C2F
	v_mfma_f32_16x16x32_fp8_fp8 v[124:127], a[122:123], v[250:251], v[124:127]// 000000007690: D3F3007C 0DF3F57A
	v_mfma_f32_16x16x32_fp8_fp8 v[124:127], a[124:125], v[252:253], v[124:127]// 000000007698: D3F3007C 0DF3F97C
	ds_read_b128 v[220:223], v2 offset:1216                    // 0000000076A0: D9FE04C0 DC000002
	v_mfma_f32_16x16x32_fp8_fp8 v[124:127], a[126:127], v[254:255], v[124:127]// 0000000076A8: D3F3007C 0DF3FD7E
	v_mul_f32_dpp v56, v24, v21 row_newbcast:2 row_mask:0xf bank_mask:0xf// 0000000076B0: 0A702AFA FF015218
	v_mov_b32_e32 v57, v56                                     // 0000000076B8: 7E720338
	v_pk_fma_f32 v[64:65], v[96:97], v[56:57], v[64:65]        // 0000000076BC: D3B04040 1D027160
	v_pk_fma_f32 v[66:67], v[98:99], v[56:57], v[66:67]        // 0000000076C4: D3B04042 1D0A7162
	v_pk_fma_f32 v[72:73], v[104:105], v[56:57], v[72:73]      // 0000000076CC: D3B04048 1D227168
	v_pk_fma_f32 v[74:75], v[106:107], v[56:57], v[74:75]      // 0000000076D4: D3B0404A 1D2A716A
	v_mul_f32_dpp v56, v24, v21 row_newbcast:3 row_mask:0xf bank_mask:0xf// 0000000076DC: 0A702AFA FF015318
	v_mov_b32_e32 v57, v56                                     // 0000000076E4: 7E720338
	v_pk_fma_f32 v[80:81], v[112:113], v[56:57], v[80:81]      // 0000000076E8: D3B04050 1D427170
	v_pk_fma_f32 v[82:83], v[114:115], v[56:57], v[82:83]      // 0000000076F0: D3B04052 1D4A7172
	v_pk_fma_f32 v[88:89], v[120:121], v[56:57], v[88:89]      // 0000000076F8: D3B04058 1D627178
	v_pk_fma_f32 v[90:91], v[122:123], v[56:57], v[90:91]      // 000000007700: D3B0405A 1D6A717A
	v_mul_f32_dpp v56, v24, v22 row_newbcast:2 row_mask:0xf bank_mask:0xf// 000000007708: 0A702CFA FF015218
	v_mov_b32_e32 v57, v56                                     // 000000007710: 7E720338
	v_pk_fma_f32 v[68:69], v[100:101], v[56:57], v[68:69]      // 000000007714: D3B04044 1D127164
	v_pk_fma_f32 v[70:71], v[102:103], v[56:57], v[70:71]      // 00000000771C: D3B04046 1D1A7166
	v_pk_fma_f32 v[76:77], v[108:109], v[56:57], v[76:77]      // 000000007724: D3B0404C 1D32716C
	v_pk_fma_f32 v[78:79], v[110:111], v[56:57], v[78:79]      // 00000000772C: D3B0404E 1D3A716E
	v_mul_f32_dpp v56, v24, v22 row_newbcast:3 row_mask:0xf bank_mask:0xf// 000000007734: 0A702CFA FF015318
	v_mov_b32_e32 v57, v56                                     // 00000000773C: 7E720338
	v_pk_fma_f32 v[84:85], v[116:117], v[56:57], v[84:85]      // 000000007740: D3B04054 1D527174
	v_pk_fma_f32 v[86:87], v[118:119], v[56:57], v[86:87]      // 000000007748: D3B04056 1D5A7176
	v_pk_fma_f32 v[92:93], v[124:125], v[56:57], v[92:93]      // 000000007750: D3B0405C 1D72717C
	v_pk_fma_f32 v[94:95], v[126:127], v[56:57], v[94:95]      // 000000007758: D3B0405E 1D7A717E
	s_add_u32 s60, 0x200, s80                                  // 000000007760: 803C50FF 00000200
	s_cmp_lt_u32 s60, s81                                      // 000000007768: BF0A513C
	s_cselect_b32 s57, s57, 0                                  // 00000000776C: 85398039
	s_cselect_b32 s3, s3, 0                                    // 000000007770: 85038003
	s_add_u32 s60, 0x200, s80                                  // 000000007774: 803C50FF 00000200
	s_cmp_lt_u32 s60, s81                                      // 00000000777C: BF0A513C
	s_cselect_b32 s58, s58, 0                                  // 000000007780: 853A803A
	s_add_u32 s20, s57, s20                                    // 000000007784: 80141439
	s_addc_u32 s21, 0, s21                                     // 000000007788: 82151580
	s_add_u32 s28, s3, s28                                     // 00000000778C: 801C1C03
	s_addc_u32 s29, 0, s29                                     // 000000007790: 821D1D80
	s_add_u32 s24, s58, s24                                    // 000000007794: 8018183A
	s_addc_u32 s25, 0, s25                                     // 000000007798: 82191980
	s_add_u32 s92, s90, s92                                    // 00000000779C: 805C5C5A
	s_addc_u32 s93, 0, s93                                     // 0000000077A0: 825D5D80
	s_addk_i32 s80, 0x100                                      // 0000000077A4: B7500100
	s_cmp_lt_i32 s80, s81                                      // 0000000077A8: BF045150
	s_cbranch_scc0 label_126D                                  // 0000000077AC: BF840001
	s_branch label_0DCC                                        // 0000000077B0: BF82FB5F

00000000000077b4 <label_126D>:
	s_mov_b32 s20, 0                                           // 0000000077B4: BE940080
	s_cmp_lt_u32 s89, s66                                      // 0000000077B8: BF0A4259
	s_cselect_b32 s60, 0, 1                                    // 0000000077BC: 853C8180
	s_lshl1_add_u32 s20, s20, s60                              // 0000000077C0: 97143C14
	s_cmp_lt_u32 s88, s66                                      // 0000000077C4: BF0A4258
	s_cselect_b32 s60, 0, 1                                    // 0000000077C8: 853C8180
	s_lshl1_add_u32 s20, s20, s60                              // 0000000077CC: 97143C14
	s_cmp_lt_u32 s87, s66                                      // 0000000077D0: BF0A4257
	s_cselect_b32 s60, 0, 1                                    // 0000000077D4: 853C8180
	s_lshl1_add_u32 s20, s20, s60                              // 0000000077D8: 97143C14
	s_cmp_lt_u32 s86, s66                                      // 0000000077DC: BF0A4256
	s_cselect_b32 s60, 0, 1                                    // 0000000077E0: 853C8180
	s_lshl1_add_u32 s20, s20, s60                              // 0000000077E4: 97143C14
	s_cmp_lt_u32 s85, s66                                      // 0000000077E8: BF0A4255
	s_cselect_b32 s60, 0, 1                                    // 0000000077EC: 853C8180
	s_lshl1_add_u32 s20, s20, s60                              // 0000000077F0: 97143C14
	s_cmp_lt_u32 s84, s66                                      // 0000000077F4: BF0A4254
	s_cselect_b32 s60, 0, 1                                    // 0000000077F8: 853C8180
	s_lshl1_add_u32 s20, s20, s60                              // 0000000077FC: 97143C14
	s_cmp_lt_u32 s83, s66                                      // 000000007800: BF0A4253
	s_cselect_b32 s60, 0, 1                                    // 000000007804: 853C8180
	s_lshl1_add_u32 s20, s20, s60                              // 000000007808: 97143C14
	s_cmp_lt_u32 s82, s66                                      // 00000000780C: BF0A4252
	s_cselect_b32 s60, 0, 1                                    // 000000007810: 853C8180
	s_lshl1_add_u32 s20, s20, s60                              // 000000007814: 97143C14
	s_waitcnt vmcnt(12)                                        // 000000007818: BF8C0F7C
	buffer_load_dwordx4 a[0:3], v48, s[12:15], 0 offen         // 00000000781C: E05C1000 80830030
	v_mul_f32_e64 v56, -v128, s6                               // 000000007824: D1050038 20000D80
	v_mul_f32_e64 v57, -v129, s6                               // 00000000782C: D1050039 20000D81
	v_mul_f32_e64 v58, -v130, s6                               // 000000007834: D105003A 20000D82
	v_mul_f32_e64 v59, -v131, s6                               // 00000000783C: D105003B 20000D83
	v_exp_f32_e32 v56, v56                                     // 000000007844: 7E704138
	v_exp_f32_e32 v57, v57                                     // 000000007848: 7E724139
	v_exp_f32_e32 v58, v58                                     // 00000000784C: 7E74413A
	v_exp_f32_e32 v59, v59                                     // 000000007850: 7E76413B
	buffer_load_dwordx4 a[4:7], v49, s[12:15], 0 offen         // 000000007854: E05C1000 80830431
	v_add_f32_e64 v56, v56, 1.0                                // 00000000785C: D1010038 0001E538
	v_add_f32_e64 v57, v57, 1.0                                // 000000007864: D1010039 0001E539
	v_add_f32_e64 v58, v58, 1.0                                // 00000000786C: D101003A 0001E53A
	v_add_f32_e64 v59, v59, 1.0                                // 000000007874: D101003B 0001E53B
	v_rcp_f32_e32 v56, v56                                     // 00000000787C: 7E704538
	v_rcp_f32_e32 v57, v57                                     // 000000007880: 7E724539
	v_rcp_f32_e32 v58, v58                                     // 000000007884: 7E74453A
	v_rcp_f32_e32 v59, v59                                     // 000000007888: 7E76453B
	v_mul_f32_e32 v128, v128, v56                              // 00000000788C: 0B007180
	v_mul_f32_e32 v129, v129, v57                              // 000000007890: 0B027381
	v_mul_f32_e32 v130, v130, v58                              // 000000007894: 0B047582
	v_mul_f32_e32 v131, v131, v59                              // 000000007898: 0B067783
	v_mul_f32_e32 v128, v128, v64                              // 00000000789C: 0B008180
	v_mul_f32_e32 v129, v129, v65                              // 0000000078A0: 0B028381
	v_mul_f32_e32 v130, v130, v66                              // 0000000078A4: 0B048582
	v_mul_f32_e32 v131, v131, v67                              // 0000000078A8: 0B068783
	buffer_load_dwordx4 a[8:11], v50, s[12:15], 0 offen        // 0000000078AC: E05C1000 80830832
	v_mul_f32_e64 v56, -v132, s6                               // 0000000078B4: D1050038 20000D84
	v_mul_f32_e64 v57, -v133, s6                               // 0000000078BC: D1050039 20000D85
	v_mul_f32_e64 v58, -v134, s6                               // 0000000078C4: D105003A 20000D86
	v_mul_f32_e64 v59, -v135, s6                               // 0000000078CC: D105003B 20000D87
	v_exp_f32_e32 v56, v56                                     // 0000000078D4: 7E704138
	v_exp_f32_e32 v57, v57                                     // 0000000078D8: 7E724139
	v_exp_f32_e32 v58, v58                                     // 0000000078DC: 7E74413A
	v_exp_f32_e32 v59, v59                                     // 0000000078E0: 7E76413B
	buffer_load_dwordx4 a[12:15], v51, s[12:15], 0 offen       // 0000000078E4: E05C1000 80830C33
	s_add_u32 s12, s78, s12                                    // 0000000078EC: 800C0C4E
	s_addc_u32 s13, 0, s13                                     // 0000000078F0: 820D0D80
	v_add_f32_e64 v56, v56, 1.0                                // 0000000078F4: D1010038 0001E538
	v_add_f32_e64 v57, v57, 1.0                                // 0000000078FC: D1010039 0001E539
	v_add_f32_e64 v58, v58, 1.0                                // 000000007904: D101003A 0001E53A
	v_add_f32_e64 v59, v59, 1.0                                // 00000000790C: D101003B 0001E53B
	v_rcp_f32_e32 v56, v56                                     // 000000007914: 7E704538
	v_rcp_f32_e32 v57, v57                                     // 000000007918: 7E724539
	v_rcp_f32_e32 v58, v58                                     // 00000000791C: 7E74453A
	v_rcp_f32_e32 v59, v59                                     // 000000007920: 7E76453B
	v_mul_f32_e32 v132, v132, v56                              // 000000007924: 0B087184
	v_mul_f32_e32 v133, v133, v57                              // 000000007928: 0B0A7385
	v_mul_f32_e32 v134, v134, v58                              // 00000000792C: 0B0C7586
	v_mul_f32_e32 v135, v135, v59                              // 000000007930: 0B0E7787
	v_mul_f32_e32 v132, v132, v68                              // 000000007934: 0B088984
	v_mul_f32_e32 v133, v133, v69                              // 000000007938: 0B0A8B85
	v_mul_f32_e32 v134, v134, v70                              // 00000000793C: 0B0C8D86
	v_mul_f32_e32 v135, v135, v71                              // 000000007940: 0B0E8F87
	s_waitcnt vmcnt(12)                                        // 000000007944: BF8C0F7C
	buffer_load_dwordx4 a[16:19], v48, s[12:15], 0 offen       // 000000007948: E05C1000 80831030
	v_mul_f32_e64 v56, -v136, s6                               // 000000007950: D1050038 20000D88
	v_mul_f32_e64 v57, -v137, s6                               // 000000007958: D1050039 20000D89
	v_mul_f32_e64 v58, -v138, s6                               // 000000007960: D105003A 20000D8A
	v_mul_f32_e64 v59, -v139, s6                               // 000000007968: D105003B 20000D8B
	v_exp_f32_e32 v56, v56                                     // 000000007970: 7E704138
	v_exp_f32_e32 v57, v57                                     // 000000007974: 7E724139
	v_exp_f32_e32 v58, v58                                     // 000000007978: 7E74413A
	v_exp_f32_e32 v59, v59                                     // 00000000797C: 7E76413B
	buffer_load_dwordx4 a[20:23], v49, s[12:15], 0 offen       // 000000007980: E05C1000 80831431
	v_add_f32_e64 v56, v56, 1.0                                // 000000007988: D1010038 0001E538
	v_add_f32_e64 v57, v57, 1.0                                // 000000007990: D1010039 0001E539
	v_add_f32_e64 v58, v58, 1.0                                // 000000007998: D101003A 0001E53A
	v_add_f32_e64 v59, v59, 1.0                                // 0000000079A0: D101003B 0001E53B
	v_rcp_f32_e32 v56, v56                                     // 0000000079A8: 7E704538
	v_rcp_f32_e32 v57, v57                                     // 0000000079AC: 7E724539
	v_rcp_f32_e32 v58, v58                                     // 0000000079B0: 7E74453A
	v_rcp_f32_e32 v59, v59                                     // 0000000079B4: 7E76453B
	v_mul_f32_e32 v136, v136, v56                              // 0000000079B8: 0B107188
	v_mul_f32_e32 v137, v137, v57                              // 0000000079BC: 0B127389
	v_mul_f32_e32 v138, v138, v58                              // 0000000079C0: 0B14758A
	v_mul_f32_e32 v139, v139, v59                              // 0000000079C4: 0B16778B
	v_mul_f32_e32 v136, v136, v72                              // 0000000079C8: 0B109188
	v_mul_f32_e32 v137, v137, v73                              // 0000000079CC: 0B129389
	v_mul_f32_e32 v138, v138, v74                              // 0000000079D0: 0B14958A
	v_mul_f32_e32 v139, v139, v75                              // 0000000079D4: 0B16978B
	buffer_load_dwordx4 a[24:27], v50, s[12:15], 0 offen       // 0000000079D8: E05C1000 80831832
	v_mul_f32_e64 v56, -v140, s6                               // 0000000079E0: D1050038 20000D8C
	v_mul_f32_e64 v57, -v141, s6                               // 0000000079E8: D1050039 20000D8D
	v_mul_f32_e64 v58, -v142, s6                               // 0000000079F0: D105003A 20000D8E
	v_mul_f32_e64 v59, -v143, s6                               // 0000000079F8: D105003B 20000D8F
	v_exp_f32_e32 v56, v56                                     // 000000007A00: 7E704138
	v_exp_f32_e32 v57, v57                                     // 000000007A04: 7E724139
	v_exp_f32_e32 v58, v58                                     // 000000007A08: 7E74413A
	v_exp_f32_e32 v59, v59                                     // 000000007A0C: 7E76413B
	buffer_load_dwordx4 a[28:31], v51, s[12:15], 0 offen       // 000000007A10: E05C1000 80831C33
	s_add_u32 s12, s78, s12                                    // 000000007A18: 800C0C4E
	s_addc_u32 s13, 0, s13                                     // 000000007A1C: 820D0D80
	v_add_f32_e64 v56, v56, 1.0                                // 000000007A20: D1010038 0001E538
	v_add_f32_e64 v57, v57, 1.0                                // 000000007A28: D1010039 0001E539
	v_add_f32_e64 v58, v58, 1.0                                // 000000007A30: D101003A 0001E53A
	v_add_f32_e64 v59, v59, 1.0                                // 000000007A38: D101003B 0001E53B
	v_rcp_f32_e32 v56, v56                                     // 000000007A40: 7E704538
	v_rcp_f32_e32 v57, v57                                     // 000000007A44: 7E724539
	v_rcp_f32_e32 v58, v58                                     // 000000007A48: 7E74453A
	v_rcp_f32_e32 v59, v59                                     // 000000007A4C: 7E76453B
	v_mul_f32_e32 v140, v140, v56                              // 000000007A50: 0B18718C
	v_mul_f32_e32 v141, v141, v57                              // 000000007A54: 0B1A738D
	v_mul_f32_e32 v142, v142, v58                              // 000000007A58: 0B1C758E
	v_mul_f32_e32 v143, v143, v59                              // 000000007A5C: 0B1E778F
	v_mul_f32_e32 v140, v140, v76                              // 000000007A60: 0B18998C
	v_mul_f32_e32 v141, v141, v77                              // 000000007A64: 0B1A9B8D
	v_mul_f32_e32 v142, v142, v78                              // 000000007A68: 0B1C9D8E
	v_mul_f32_e32 v143, v143, v79                              // 000000007A6C: 0B1E9F8F
	s_waitcnt vmcnt(12)                                        // 000000007A70: BF8C0F7C
	buffer_load_dwordx4 a[32:35], v48, s[12:15], 0 offen       // 000000007A74: E05C1000 80832030
	v_mul_f32_e64 v56, -v144, s6                               // 000000007A7C: D1050038 20000D90
	v_mul_f32_e64 v57, -v145, s6                               // 000000007A84: D1050039 20000D91
	v_mul_f32_e64 v58, -v146, s6                               // 000000007A8C: D105003A 20000D92
	v_mul_f32_e64 v59, -v147, s6                               // 000000007A94: D105003B 20000D93
	v_exp_f32_e32 v56, v56                                     // 000000007A9C: 7E704138
	v_exp_f32_e32 v57, v57                                     // 000000007AA0: 7E724139
	v_exp_f32_e32 v58, v58                                     // 000000007AA4: 7E74413A
	v_exp_f32_e32 v59, v59                                     // 000000007AA8: 7E76413B
	buffer_load_dwordx4 a[36:39], v49, s[12:15], 0 offen       // 000000007AAC: E05C1000 80832431
	v_add_f32_e64 v56, v56, 1.0                                // 000000007AB4: D1010038 0001E538
	v_add_f32_e64 v57, v57, 1.0                                // 000000007ABC: D1010039 0001E539
	v_add_f32_e64 v58, v58, 1.0                                // 000000007AC4: D101003A 0001E53A
	v_add_f32_e64 v59, v59, 1.0                                // 000000007ACC: D101003B 0001E53B
	v_rcp_f32_e32 v56, v56                                     // 000000007AD4: 7E704538
	v_rcp_f32_e32 v57, v57                                     // 000000007AD8: 7E724539
	v_rcp_f32_e32 v58, v58                                     // 000000007ADC: 7E74453A
	v_rcp_f32_e32 v59, v59                                     // 000000007AE0: 7E76453B
	v_mul_f32_e32 v144, v144, v56                              // 000000007AE4: 0B207190
	v_mul_f32_e32 v145, v145, v57                              // 000000007AE8: 0B227391
	v_mul_f32_e32 v146, v146, v58                              // 000000007AEC: 0B247592
	v_mul_f32_e32 v147, v147, v59                              // 000000007AF0: 0B267793
	v_mul_f32_e32 v144, v144, v80                              // 000000007AF4: 0B20A190
	v_mul_f32_e32 v145, v145, v81                              // 000000007AF8: 0B22A391
	v_mul_f32_e32 v146, v146, v82                              // 000000007AFC: 0B24A592
	v_mul_f32_e32 v147, v147, v83                              // 000000007B00: 0B26A793
	buffer_load_dwordx4 a[40:43], v50, s[12:15], 0 offen       // 000000007B04: E05C1000 80832832
	v_mul_f32_e64 v56, -v148, s6                               // 000000007B0C: D1050038 20000D94
	v_mul_f32_e64 v57, -v149, s6                               // 000000007B14: D1050039 20000D95
	v_mul_f32_e64 v58, -v150, s6                               // 000000007B1C: D105003A 20000D96
	v_mul_f32_e64 v59, -v151, s6                               // 000000007B24: D105003B 20000D97
	v_exp_f32_e32 v56, v56                                     // 000000007B2C: 7E704138
	v_exp_f32_e32 v57, v57                                     // 000000007B30: 7E724139
	v_exp_f32_e32 v58, v58                                     // 000000007B34: 7E74413A
	v_exp_f32_e32 v59, v59                                     // 000000007B38: 7E76413B
	buffer_load_dwordx4 a[44:47], v51, s[12:15], 0 offen       // 000000007B3C: E05C1000 80832C33
	s_add_u32 s12, s78, s12                                    // 000000007B44: 800C0C4E
	s_addc_u32 s13, 0, s13                                     // 000000007B48: 820D0D80
	v_add_f32_e64 v56, v56, 1.0                                // 000000007B4C: D1010038 0001E538
	v_add_f32_e64 v57, v57, 1.0                                // 000000007B54: D1010039 0001E539
	v_add_f32_e64 v58, v58, 1.0                                // 000000007B5C: D101003A 0001E53A
	v_add_f32_e64 v59, v59, 1.0                                // 000000007B64: D101003B 0001E53B
	v_rcp_f32_e32 v56, v56                                     // 000000007B6C: 7E704538
	v_rcp_f32_e32 v57, v57                                     // 000000007B70: 7E724539
	v_rcp_f32_e32 v58, v58                                     // 000000007B74: 7E74453A
	v_rcp_f32_e32 v59, v59                                     // 000000007B78: 7E76453B
	v_mul_f32_e32 v148, v148, v56                              // 000000007B7C: 0B287194
	v_mul_f32_e32 v149, v149, v57                              // 000000007B80: 0B2A7395
	v_mul_f32_e32 v150, v150, v58                              // 000000007B84: 0B2C7596
	v_mul_f32_e32 v151, v151, v59                              // 000000007B88: 0B2E7797
	v_mul_f32_e32 v148, v148, v84                              // 000000007B8C: 0B28A994
	v_mul_f32_e32 v149, v149, v85                              // 000000007B90: 0B2AAB95
	v_mul_f32_e32 v150, v150, v86                              // 000000007B94: 0B2CAD96
	v_mul_f32_e32 v151, v151, v87                              // 000000007B98: 0B2EAF97
	s_waitcnt vmcnt(12)                                        // 000000007B9C: BF8C0F7C
	buffer_load_dwordx4 a[48:51], v48, s[12:15], 0 offen       // 000000007BA0: E05C1000 80833030
	v_mul_f32_e64 v56, -v152, s6                               // 000000007BA8: D1050038 20000D98
	v_mul_f32_e64 v57, -v153, s6                               // 000000007BB0: D1050039 20000D99
	v_mul_f32_e64 v58, -v154, s6                               // 000000007BB8: D105003A 20000D9A
	v_mul_f32_e64 v59, -v155, s6                               // 000000007BC0: D105003B 20000D9B
	v_exp_f32_e32 v56, v56                                     // 000000007BC8: 7E704138
	v_exp_f32_e32 v57, v57                                     // 000000007BCC: 7E724139
	v_exp_f32_e32 v58, v58                                     // 000000007BD0: 7E74413A
	v_exp_f32_e32 v59, v59                                     // 000000007BD4: 7E76413B
	buffer_load_dwordx4 a[52:55], v49, s[12:15], 0 offen       // 000000007BD8: E05C1000 80833431
	v_add_f32_e64 v56, v56, 1.0                                // 000000007BE0: D1010038 0001E538
	v_add_f32_e64 v57, v57, 1.0                                // 000000007BE8: D1010039 0001E539
	v_add_f32_e64 v58, v58, 1.0                                // 000000007BF0: D101003A 0001E53A
	v_add_f32_e64 v59, v59, 1.0                                // 000000007BF8: D101003B 0001E53B
	v_rcp_f32_e32 v56, v56                                     // 000000007C00: 7E704538
	v_rcp_f32_e32 v57, v57                                     // 000000007C04: 7E724539
	v_rcp_f32_e32 v58, v58                                     // 000000007C08: 7E74453A
	v_rcp_f32_e32 v59, v59                                     // 000000007C0C: 7E76453B
	v_mul_f32_e32 v152, v152, v56                              // 000000007C10: 0B307198
	v_mul_f32_e32 v153, v153, v57                              // 000000007C14: 0B327399
	v_mul_f32_e32 v154, v154, v58                              // 000000007C18: 0B34759A
	v_mul_f32_e32 v155, v155, v59                              // 000000007C1C: 0B36779B
	v_mul_f32_e32 v152, v152, v88                              // 000000007C20: 0B30B198
	v_mul_f32_e32 v153, v153, v89                              // 000000007C24: 0B32B399
	v_mul_f32_e32 v154, v154, v90                              // 000000007C28: 0B34B59A
	v_mul_f32_e32 v155, v155, v91                              // 000000007C2C: 0B36B79B
	buffer_load_dwordx4 a[56:59], v50, s[12:15], 0 offen       // 000000007C30: E05C1000 80833832
	v_mul_f32_e64 v56, -v156, s6                               // 000000007C38: D1050038 20000D9C
	v_mul_f32_e64 v57, -v157, s6                               // 000000007C40: D1050039 20000D9D
	v_mul_f32_e64 v58, -v158, s6                               // 000000007C48: D105003A 20000D9E
	v_mul_f32_e64 v59, -v159, s6                               // 000000007C50: D105003B 20000D9F
	v_exp_f32_e32 v56, v56                                     // 000000007C58: 7E704138
	v_exp_f32_e32 v57, v57                                     // 000000007C5C: 7E724139
	v_exp_f32_e32 v58, v58                                     // 000000007C60: 7E74413A
	v_exp_f32_e32 v59, v59                                     // 000000007C64: 7E76413B
	buffer_load_dwordx4 a[60:63], v51, s[12:15], 0 offen       // 000000007C68: E05C1000 80833C33
	v_add_f32_e64 v56, v56, 1.0                                // 000000007C70: D1010038 0001E538
	v_add_f32_e64 v57, v57, 1.0                                // 000000007C78: D1010039 0001E539
	v_add_f32_e64 v58, v58, 1.0                                // 000000007C80: D101003A 0001E53A
	v_add_f32_e64 v59, v59, 1.0                                // 000000007C88: D101003B 0001E53B
	v_rcp_f32_e32 v56, v56                                     // 000000007C90: 7E704538
	v_rcp_f32_e32 v57, v57                                     // 000000007C94: 7E724539
	v_rcp_f32_e32 v58, v58                                     // 000000007C98: 7E74453A
	v_rcp_f32_e32 v59, v59                                     // 000000007C9C: 7E76453B
	v_mul_f32_e32 v156, v156, v56                              // 000000007CA0: 0B38719C
	v_mul_f32_e32 v157, v157, v57                              // 000000007CA4: 0B3A739D
	v_mul_f32_e32 v158, v158, v58                              // 000000007CA8: 0B3C759E
	v_mul_f32_e32 v159, v159, v59                              // 000000007CAC: 0B3E779F
	v_mul_f32_e32 v156, v156, v92                              // 000000007CB0: 0B38B99C
	v_mul_f32_e32 v157, v157, v93                              // 000000007CB4: 0B3ABB9D
	v_mul_f32_e32 v158, v158, v94                              // 000000007CB8: 0B3CBD9E
	v_mul_f32_e32 v159, v159, v95                              // 000000007CBC: 0B3EBF9F
	v_lshlrev_b32_e32 v56, 2, v0                               // 000000007CC0: 24700082
	s_mul_i32 s60, s82, s71                                    // 000000007CC4: 923C4752
	v_add_u32_e64 v80, v56, s60                                // 000000007CC8: D1340050 00007938
	v_mov_b32_e32 v81, 0                                       // 000000007CD0: 7EA20280
	s_mul_i32 s60, s83, s71                                    // 000000007CD4: 923C4753
	v_add_u32_e64 v82, v56, s60                                // 000000007CD8: D1340052 00007938
	v_mov_b32_e32 v83, 0                                       // 000000007CE0: 7EA60280
	s_mul_i32 s60, s84, s71                                    // 000000007CE4: 923C4754
	v_add_u32_e64 v84, v56, s60                                // 000000007CE8: D1340054 00007938
	v_mov_b32_e32 v85, 0                                       // 000000007CF0: 7EAA0280
	s_mul_i32 s60, s85, s71                                    // 000000007CF4: 923C4755
	v_add_u32_e64 v86, v56, s60                                // 000000007CF8: D1340056 00007938
	v_mov_b32_e32 v87, 0                                       // 000000007D00: 7EAE0280
	s_mul_i32 s60, s86, s71                                    // 000000007D04: 923C4756
	v_add_u32_e64 v88, v56, s60                                // 000000007D08: D1340058 00007938
	v_mov_b32_e32 v89, 0                                       // 000000007D10: 7EB20280
	s_mul_i32 s60, s87, s71                                    // 000000007D14: 923C4757
	v_add_u32_e64 v90, v56, s60                                // 000000007D18: D134005A 00007938
	v_mov_b32_e32 v91, 0                                       // 000000007D20: 7EB60280
	s_mul_i32 s60, s88, s71                                    // 000000007D24: 923C4758
	v_add_u32_e64 v92, v56, s60                                // 000000007D28: D134005C 00007938
	v_mov_b32_e32 v93, 0                                       // 000000007D30: 7EBA0280
	s_mul_i32 s60, s89, s71                                    // 000000007D34: 923C4759
	v_add_u32_e64 v94, v56, s60                                // 000000007D38: D134005E 00007938
	v_mov_b32_e32 v95, 0                                       // 000000007D40: 7EBE0280
	buffer_load_dword v23, v6, s[16:19], 0 offen               // 000000007D44: E0501000 80041706
	v_mov_b32_e32 v28, 0x358637bd                              // 000000007D4C: 7E3802FF 358637BD
	v_mov_b32_e32 v29, 0x358637bd                              // 000000007D54: 7E3A02FF 358637BD
	v_max3_f32 v28, |v128|, |v129|, v28                        // 000000007D5C: D1D3031C 04730380
	v_max3_f32 v28, |v130|, |v131|, v28                        // 000000007D64: D1D3031C 04730782
	v_max3_f32 v29, |v132|, |v133|, v29                        // 000000007D6C: D1D3031D 04770B84
	v_max3_f32 v29, |v134|, |v135|, v29                        // 000000007D74: D1D3031D 04770F86
	v_max3_f32 v28, |v136|, |v137|, v28                        // 000000007D7C: D1D3031C 04731388
	v_max3_f32 v28, |v138|, |v139|, v28                        // 000000007D84: D1D3031C 0473178A
	v_max3_f32 v29, |v140|, |v141|, v29                        // 000000007D8C: D1D3031D 04771B8C
	v_max3_f32 v29, |v142|, |v143|, v29                        // 000000007D94: D1D3031D 04771F8E
	v_lshlrev_b32_e32 v56, 3, v0                               // 000000007D9C: 24700083
	s_mul_i32 s60, 0x200, s7                                   // 000000007DA0: 923C07FF 00000200
	v_add_u32_e32 v56, s60, v56                                // 000000007DA8: 6870703C
	ds_write_b64 v56, v[28:29] offset:18688                    // 000000007DAC: D89A4900 00001C38
	s_waitcnt lgkmcnt(0)                                       // 000000007DB4: BF8CC07F
	s_barrier                                                  // 000000007DB8: BF8A0000
	v_and_b32_e32 v56, 15, v0                                  // 000000007DBC: 2670008F
	v_lshlrev_b32_e32 v56, 3, v56                              // 000000007DC0: 24707083
	ds_read_b64 v[96:97], v56 offset:18688                     // 000000007DC4: D8EC4900 60000038
	ds_read_b64 v[98:99], v56 offset:18816                     // 000000007DCC: D8EC4980 62000038
	ds_read_b64 v[100:101], v56 offset:18944                   // 000000007DD4: D8EC4A00 64000038
	ds_read_b64 v[102:103], v56 offset:19072                   // 000000007DDC: D8EC4A80 66000038
	ds_read_b64 v[104:105], v56 offset:19200                   // 000000007DE4: D8EC4B00 68000038
	ds_read_b64 v[106:107], v56 offset:19328                   // 000000007DEC: D8EC4B80 6A000038
	ds_read_b64 v[108:109], v56 offset:19456                   // 000000007DF4: D8EC4C00 6C000038
	ds_read_b64 v[110:111], v56 offset:19584                   // 000000007DFC: D8EC4C80 6E000038
	ds_read_b64 v[112:113], v56 offset:19712                   // 000000007E04: D8EC4D00 70000038
	ds_read_b64 v[114:115], v56 offset:19840                   // 000000007E0C: D8EC4D80 72000038
	ds_read_b64 v[116:117], v56 offset:19968                   // 000000007E14: D8EC4E00 74000038
	ds_read_b64 v[118:119], v56 offset:20096                   // 000000007E1C: D8EC4E80 76000038
	ds_read_b64 v[120:121], v56 offset:20224                   // 000000007E24: D8EC4F00 78000038
	ds_read_b64 v[122:123], v56 offset:20352                   // 000000007E2C: D8EC4F80 7A000038
	ds_read_b64 v[124:125], v56 offset:20480                   // 000000007E34: D8EC5000 7C000038
	ds_read_b64 v[126:127], v56 offset:20608                   // 000000007E3C: D8EC5080 7E000038
	s_waitcnt lgkmcnt(0)                                       // 000000007E44: BF8CC07F
	v_max3_f32 v28, |v96|, |v98|, v28                          // 000000007E48: D1D3031C 0472C560
	v_max3_f32 v29, |v97|, |v99|, v29                          // 000000007E50: D1D3031D 0476C761
	v_max3_f32 v28, |v100|, |v102|, v28                        // 000000007E58: D1D3031C 0472CD64
	v_max3_f32 v29, |v101|, |v103|, v29                        // 000000007E60: D1D3031D 0476CF65
	v_max3_f32 v28, |v104|, |v106|, v28                        // 000000007E68: D1D3031C 0472D568
	v_max3_f32 v29, |v105|, |v107|, v29                        // 000000007E70: D1D3031D 0476D769
	v_max3_f32 v28, |v108|, |v110|, v28                        // 000000007E78: D1D3031C 0472DD6C
	v_max3_f32 v29, |v109|, |v111|, v29                        // 000000007E80: D1D3031D 0476DF6D
	v_max3_f32 v28, |v112|, |v114|, v28                        // 000000007E88: D1D3031C 0472E570
	v_max3_f32 v29, |v113|, |v115|, v29                        // 000000007E90: D1D3031D 0476E771
	v_max3_f32 v28, |v116|, |v118|, v28                        // 000000007E98: D1D3031C 0472ED74
	v_max3_f32 v29, |v117|, |v119|, v29                        // 000000007EA0: D1D3031D 0476EF75
	v_max3_f32 v28, |v120|, |v122|, v28                        // 000000007EA8: D1D3031C 0472F578
	v_max3_f32 v29, |v121|, |v123|, v29                        // 000000007EB0: D1D3031D 0476F779
	v_max3_f32 v28, |v124|, |v126|, v28                        // 000000007EB8: D1D3031C 0472FD7C
	v_max3_f32 v29, |v125|, |v127|, v29                        // 000000007EC0: D1D3031D 0476FF7D
	v_rcp_f32_e32 v28, v28                                     // 000000007EC8: 7E38451C
	v_rcp_f32_e32 v29, v29                                     // 000000007ECC: 7E3A451D
	v_mov_b32_e32 v56, 0x43700000                              // 000000007ED0: 7E7002FF 43700000
	v_mul_f32_e32 v28, v56, v28                                // 000000007ED8: 0A383938
	v_mul_f32_e32 v29, v56, v29                                // 000000007EDC: 0A3A3B38
	v_mul_f32_e32 v128, v28, v128                              // 000000007EE0: 0B01011C
	v_mul_f32_e32 v129, v28, v129                              // 000000007EE4: 0B03031C
	v_mul_f32_e32 v130, v28, v130                              // 000000007EE8: 0B05051C
	v_mul_f32_e32 v131, v28, v131                              // 000000007EEC: 0B07071C
	v_cvt_pk_fp8_f32 v128, v128, v129                          // 000000007EF0: D2A20080 00030380
	v_cvt_pk_fp8_f32 v128, v130, v131 op_sel:[0,0,1]           // 000000007EF8: D2A24080 00030782
	v_mul_f32_e32 v132, v29, v132                              // 000000007F00: 0B09091D
	v_mul_f32_e32 v133, v29, v133                              // 000000007F04: 0B0B0B1D
	v_mul_f32_e32 v134, v29, v134                              // 000000007F08: 0B0D0D1D
	v_mul_f32_e32 v135, v29, v135                              // 000000007F0C: 0B0F0F1D
	v_cvt_pk_fp8_f32 v129, v132, v133                          // 000000007F10: D2A20081 00030B84
	v_cvt_pk_fp8_f32 v129, v134, v135 op_sel:[0,0,1]           // 000000007F18: D2A24081 00030F86
	v_mul_f32_e32 v136, v28, v136                              // 000000007F20: 0B11111C
	v_mul_f32_e32 v137, v28, v137                              // 000000007F24: 0B13131C
	v_mul_f32_e32 v138, v28, v138                              // 000000007F28: 0B15151C
	v_mul_f32_e32 v139, v28, v139                              // 000000007F2C: 0B17171C
	v_cvt_pk_fp8_f32 v130, v136, v137                          // 000000007F30: D2A20082 00031388
	v_cvt_pk_fp8_f32 v130, v138, v139 op_sel:[0,0,1]           // 000000007F38: D2A24082 0003178A
	v_mul_f32_e32 v140, v29, v140                              // 000000007F40: 0B19191D
	v_mul_f32_e32 v141, v29, v141                              // 000000007F44: 0B1B1B1D
	v_mul_f32_e32 v142, v29, v142                              // 000000007F48: 0B1D1D1D
	v_mul_f32_e32 v143, v29, v143                              // 000000007F4C: 0B1F1F1D
	v_cvt_pk_fp8_f32 v131, v140, v141                          // 000000007F50: D2A20083 00031B8C
	v_cvt_pk_fp8_f32 v131, v142, v143 op_sel:[0,0,1]           // 000000007F58: D2A24083 00031F8E
	v_rcp_f32_e32 v32, v28                                     // 000000007F60: 7E40451C
	v_rcp_f32_e32 v33, v29                                     // 000000007F64: 7E42451D
	v_mov_b32_e32 v30, 0x358637bd                              // 000000007F68: 7E3C02FF 358637BD
	v_mov_b32_e32 v31, 0x358637bd                              // 000000007F70: 7E3E02FF 358637BD
	v_max3_f32 v30, |v144|, |v145|, v30                        // 000000007F78: D1D3031E 047B2390
	v_max3_f32 v30, |v146|, |v147|, v30                        // 000000007F80: D1D3031E 047B2792
	v_max3_f32 v31, |v148|, |v149|, v31                        // 000000007F88: D1D3031F 047F2B94
	v_max3_f32 v31, |v150|, |v151|, v31                        // 000000007F90: D1D3031F 047F2F96
	v_max3_f32 v30, |v152|, |v153|, v30                        // 000000007F98: D1D3031E 047B3398
	v_max3_f32 v30, |v154|, |v155|, v30                        // 000000007FA0: D1D3031E 047B379A
	v_max3_f32 v31, |v156|, |v157|, v31                        // 000000007FA8: D1D3031F 047F3B9C
	v_max3_f32 v31, |v158|, |v159|, v31                        // 000000007FB0: D1D3031F 047F3F9E
	v_lshlrev_b32_e32 v56, 3, v0                               // 000000007FB8: 24700083
	s_mul_i32 s60, 0x200, s7                                   // 000000007FBC: 923C07FF 00000200
	v_add_u32_e32 v56, s60, v56                                // 000000007FC4: 6870703C
	ds_write_b64 v56, v[30:31] offset:18688                    // 000000007FC8: D89A4900 00001E38
	s_waitcnt lgkmcnt(0)                                       // 000000007FD0: BF8CC07F
	s_barrier                                                  // 000000007FD4: BF8A0000
	v_and_b32_e32 v56, 15, v0                                  // 000000007FD8: 2670008F
	v_lshlrev_b32_e32 v56, 3, v56                              // 000000007FDC: 24707083
	ds_read_b64 v[96:97], v56 offset:18688                     // 000000007FE0: D8EC4900 60000038
	ds_read_b64 v[98:99], v56 offset:18816                     // 000000007FE8: D8EC4980 62000038
	ds_read_b64 v[100:101], v56 offset:18944                   // 000000007FF0: D8EC4A00 64000038
	ds_read_b64 v[102:103], v56 offset:19072                   // 000000007FF8: D8EC4A80 66000038
	ds_read_b64 v[104:105], v56 offset:19200                   // 000000008000: D8EC4B00 68000038
	ds_read_b64 v[106:107], v56 offset:19328                   // 000000008008: D8EC4B80 6A000038
	ds_read_b64 v[108:109], v56 offset:19456                   // 000000008010: D8EC4C00 6C000038
	ds_read_b64 v[110:111], v56 offset:19584                   // 000000008018: D8EC4C80 6E000038
	ds_read_b64 v[112:113], v56 offset:19712                   // 000000008020: D8EC4D00 70000038
	ds_read_b64 v[114:115], v56 offset:19840                   // 000000008028: D8EC4D80 72000038
	ds_read_b64 v[116:117], v56 offset:19968                   // 000000008030: D8EC4E00 74000038
	ds_read_b64 v[118:119], v56 offset:20096                   // 000000008038: D8EC4E80 76000038
	ds_read_b64 v[120:121], v56 offset:20224                   // 000000008040: D8EC4F00 78000038
	ds_read_b64 v[122:123], v56 offset:20352                   // 000000008048: D8EC4F80 7A000038
	ds_read_b64 v[124:125], v56 offset:20480                   // 000000008050: D8EC5000 7C000038
	ds_read_b64 v[126:127], v56 offset:20608                   // 000000008058: D8EC5080 7E000038
	s_waitcnt lgkmcnt(0)                                       // 000000008060: BF8CC07F
	v_max3_f32 v30, |v96|, |v98|, v30                          // 000000008064: D1D3031E 047AC560
	v_max3_f32 v31, |v97|, |v99|, v31                          // 00000000806C: D1D3031F 047EC761
	v_max3_f32 v30, |v100|, |v102|, v30                        // 000000008074: D1D3031E 047ACD64
	v_max3_f32 v31, |v101|, |v103|, v31                        // 00000000807C: D1D3031F 047ECF65
	v_max3_f32 v30, |v104|, |v106|, v30                        // 000000008084: D1D3031E 047AD568
	v_max3_f32 v31, |v105|, |v107|, v31                        // 00000000808C: D1D3031F 047ED769
	v_max3_f32 v30, |v108|, |v110|, v30                        // 000000008094: D1D3031E 047ADD6C
	v_max3_f32 v31, |v109|, |v111|, v31                        // 00000000809C: D1D3031F 047EDF6D
	v_max3_f32 v30, |v112|, |v114|, v30                        // 0000000080A4: D1D3031E 047AE570
	v_max3_f32 v31, |v113|, |v115|, v31                        // 0000000080AC: D1D3031F 047EE771
	v_max3_f32 v30, |v116|, |v118|, v30                        // 0000000080B4: D1D3031E 047AED74
	v_max3_f32 v31, |v117|, |v119|, v31                        // 0000000080BC: D1D3031F 047EEF75
	v_max3_f32 v30, |v120|, |v122|, v30                        // 0000000080C4: D1D3031E 047AF578
	v_max3_f32 v31, |v121|, |v123|, v31                        // 0000000080CC: D1D3031F 047EF779
	v_max3_f32 v30, |v124|, |v126|, v30                        // 0000000080D4: D1D3031E 047AFD7C
	v_max3_f32 v31, |v125|, |v127|, v31                        // 0000000080DC: D1D3031F 047EFF7D
	v_rcp_f32_e32 v30, v30                                     // 0000000080E4: 7E3C451E
	v_rcp_f32_e32 v31, v31                                     // 0000000080E8: 7E3E451F
	v_mov_b32_e32 v56, 0x43700000                              // 0000000080EC: 7E7002FF 43700000
	v_mul_f32_e32 v30, v56, v30                                // 0000000080F4: 0A3C3D38
	v_mul_f32_e32 v31, v56, v31                                // 0000000080F8: 0A3E3F38
	v_mul_f32_e32 v144, v30, v144                              // 0000000080FC: 0B21211E
	v_mul_f32_e32 v145, v30, v145                              // 000000008100: 0B23231E
	v_mul_f32_e32 v146, v30, v146                              // 000000008104: 0B25251E
	v_mul_f32_e32 v147, v30, v147                              // 000000008108: 0B27271E
	v_cvt_pk_fp8_f32 v132, v144, v145                          // 00000000810C: D2A20084 00032390
	v_cvt_pk_fp8_f32 v132, v146, v147 op_sel:[0,0,1]           // 000000008114: D2A24084 00032792
	v_mul_f32_e32 v148, v31, v148                              // 00000000811C: 0B29291F
	v_mul_f32_e32 v149, v31, v149                              // 000000008120: 0B2B2B1F
	v_mul_f32_e32 v150, v31, v150                              // 000000008124: 0B2D2D1F
	v_mul_f32_e32 v151, v31, v151                              // 000000008128: 0B2F2F1F
	v_cvt_pk_fp8_f32 v133, v148, v149                          // 00000000812C: D2A20085 00032B94
	v_cvt_pk_fp8_f32 v133, v150, v151 op_sel:[0,0,1]           // 000000008134: D2A24085 00032F96
	v_mul_f32_e32 v152, v30, v152                              // 00000000813C: 0B31311E
	v_mul_f32_e32 v153, v30, v153                              // 000000008140: 0B33331E
	v_mul_f32_e32 v154, v30, v154                              // 000000008144: 0B35351E
	v_mul_f32_e32 v155, v30, v155                              // 000000008148: 0B37371E
	v_cvt_pk_fp8_f32 v134, v152, v153                          // 00000000814C: D2A20086 00033398
	v_cvt_pk_fp8_f32 v134, v154, v155 op_sel:[0,0,1]           // 000000008154: D2A24086 0003379A
	v_mul_f32_e32 v156, v31, v156                              // 00000000815C: 0B39391F
	v_mul_f32_e32 v157, v31, v157                              // 000000008160: 0B3B3B1F
	v_mul_f32_e32 v158, v31, v158                              // 000000008164: 0B3D3D1F
	v_mul_f32_e32 v159, v31, v159                              // 000000008168: 0B3F3F1F
	v_cvt_pk_fp8_f32 v135, v156, v157                          // 00000000816C: D2A20087 00033B9C
	v_cvt_pk_fp8_f32 v135, v158, v159 op_sel:[0,0,1]           // 000000008174: D2A24087 00033F9E
	v_rcp_f32_e32 v34, v30                                     // 00000000817C: 7E44451E
	v_rcp_f32_e32 v35, v31                                     // 000000008180: 7E46451F
	v_lshrrev_b32_e32 v56, 5, v0                               // 000000008184: 20700085
	v_lshlrev_b32_e32 v57, 5, v56                              // 000000008188: 24727085
	v_and_b32_e32 v56, 31, v0                                  // 00000000818C: 2670009F
	v_lshrrev_b32_e32 v58, 4, v56                              // 000000008190: 20747084
	v_add_u32_e32 v57, v58, v57                                // 000000008194: 6872733A
	v_and_b32_e32 v56, 15, v0                                  // 000000008198: 2670008F
	v_lshlrev_b32_e32 v56, 1, v56                              // 00000000819C: 24707081
	v_add_u32_e32 v57, v56, v57                                // 0000000081A0: 68727338
	v_lshlrev_b32_e32 v56, 2, v57                              // 0000000081A4: 24707282
	s_mul_i32 s60, 0x100, s7                                   // 0000000081A8: 923C07FF 00000100
	v_add_u32_e64 v56, v56, s60                                // 0000000081B0: D1340038 00007938
	ds_write_b32 v56, v128 offset:20736                        // 0000000081B8: D81A5100 00008038
	ds_write_b32 v56, v129 offset:24832                        // 0000000081C0: D81A6100 00008138
	ds_write_b32 v56, v130 offset:21760                        // 0000000081C8: D81A5500 00008238
	ds_write_b32 v56, v131 offset:25856                        // 0000000081D0: D81A6500 00008338
	ds_write_b32 v56, v132 offset:22784                        // 0000000081D8: D81A5900 00008438
	ds_write_b32 v56, v133 offset:26880                        // 0000000081E0: D81A6900 00008538
	ds_write_b32 v56, v134 offset:23808                        // 0000000081E8: D81A5D00 00008638
	ds_write_b32 v56, v135 offset:27904                        // 0000000081F0: D81A6D00 00008738
	s_waitcnt lgkmcnt(0)                                       // 0000000081F8: BF8CC07F
	s_barrier                                                  // 0000000081FC: BF8A0000
	v_lshrrev_b32_e32 v56, 4, v0                               // 000000008200: 20700084
	v_lshlrev_b32_e32 v57, 6, v56                              // 000000008204: 24727086
	v_and_b32_e32 v56, 15, v0                                  // 000000008208: 2670008F
	v_lshlrev_b32_e32 v56, 1, v56                              // 00000000820C: 24707081
	v_add_u32_e32 v57, v56, v57                                // 000000008210: 68727338
	v_lshlrev_b32_e32 v56, 2, v57                              // 000000008214: 24707282
	ds_read_b64 v[128:129], v56 offset:20736                   // 000000008218: D8EC5100 80000038
	ds_read_b64 v[130:131], v56 offset:20864                   // 000000008220: D8EC5180 82000038
	ds_read_b64 v[132:133], v56 offset:21760                   // 000000008228: D8EC5500 84000038
	ds_read_b64 v[134:135], v56 offset:21888                   // 000000008230: D8EC5580 86000038
	ds_read_b64 v[136:137], v56 offset:22784                   // 000000008238: D8EC5900 88000038
	ds_read_b64 v[138:139], v56 offset:22912                   // 000000008240: D8EC5980 8A000038
	ds_read_b64 v[140:141], v56 offset:23808                   // 000000008248: D8EC5D00 8C000038
	ds_read_b64 v[142:143], v56 offset:23936                   // 000000008250: D8EC5D80 8E000038
	ds_read_b64 v[144:145], v56 offset:24832                   // 000000008258: D8EC6100 90000038
	ds_read_b64 v[146:147], v56 offset:24960                   // 000000008260: D8EC6180 92000038
	ds_read_b64 v[148:149], v56 offset:25856                   // 000000008268: D8EC6500 94000038
	ds_read_b64 v[150:151], v56 offset:25984                   // 000000008270: D8EC6580 96000038
	ds_read_b64 v[152:153], v56 offset:26880                   // 000000008278: D8EC6900 98000038
	ds_read_b64 v[154:155], v56 offset:27008                   // 000000008280: D8EC6980 9A000038
	ds_read_b64 v[156:157], v56 offset:27904                   // 000000008288: D8EC6D00 9C000038
	ds_read_b64 v[158:159], v56 offset:28032                   // 000000008290: D8EC6D80 9E000038
	s_add_u32 s12, s56, s12                                    // 000000008298: 800C0C38
	s_addc_u32 s13, 0, s13                                     // 00000000829C: 820D0D80
	s_add_u32 s16, s79, s16                                    // 0000000082A0: 8010104F
	s_addc_u32 s17, 0, s17                                     // 0000000082A4: 82111180
	s_waitcnt lgkmcnt(0)                                       // 0000000082A8: BF8CC07F
	s_barrier                                                  // 0000000082AC: BF8A0000
	v_mov_b32_e32 v192, 0                                      // 0000000082B0: 7F800280
	v_mov_b32_e32 v224, 0                                      // 0000000082B4: 7FC00280
	v_mov_b32_e32 v193, 0                                      // 0000000082B8: 7F820280
	v_mov_b32_e32 v225, 0                                      // 0000000082BC: 7FC20280
	v_mov_b32_e32 v194, 0                                      // 0000000082C0: 7F840280
	v_mov_b32_e32 v226, 0                                      // 0000000082C4: 7FC40280
	v_mov_b32_e32 v195, 0                                      // 0000000082C8: 7F860280
	v_mov_b32_e32 v227, 0                                      // 0000000082CC: 7FC60280
	v_mov_b32_e32 v196, 0                                      // 0000000082D0: 7F880280
	v_mov_b32_e32 v228, 0                                      // 0000000082D4: 7FC80280
	v_mov_b32_e32 v197, 0                                      // 0000000082D8: 7F8A0280
	v_mov_b32_e32 v229, 0                                      // 0000000082DC: 7FCA0280
	v_mov_b32_e32 v198, 0                                      // 0000000082E0: 7F8C0280
	v_mov_b32_e32 v230, 0                                      // 0000000082E4: 7FCC0280
	v_mov_b32_e32 v199, 0                                      // 0000000082E8: 7F8E0280
	v_mov_b32_e32 v231, 0                                      // 0000000082EC: 7FCE0280
	v_mov_b32_e32 v200, 0                                      // 0000000082F0: 7F900280
	v_mov_b32_e32 v232, 0                                      // 0000000082F4: 7FD00280
	v_mov_b32_e32 v201, 0                                      // 0000000082F8: 7F920280
	v_mov_b32_e32 v233, 0                                      // 0000000082FC: 7FD20280
	v_mov_b32_e32 v202, 0                                      // 000000008300: 7F940280
	v_mov_b32_e32 v234, 0                                      // 000000008304: 7FD40280
	v_mov_b32_e32 v203, 0                                      // 000000008308: 7F960280
	v_mov_b32_e32 v235, 0                                      // 00000000830C: 7FD60280
	v_mov_b32_e32 v204, 0                                      // 000000008310: 7F980280
	v_mov_b32_e32 v236, 0                                      // 000000008314: 7FD80280
	v_mov_b32_e32 v205, 0                                      // 000000008318: 7F9A0280
	v_mov_b32_e32 v237, 0                                      // 00000000831C: 7FDA0280
	v_mov_b32_e32 v206, 0                                      // 000000008320: 7F9C0280
	v_mov_b32_e32 v238, 0                                      // 000000008324: 7FDC0280
	v_mov_b32_e32 v207, 0                                      // 000000008328: 7F9E0280
	v_mov_b32_e32 v239, 0                                      // 00000000832C: 7FDE0280
	ds_write_b64 v4, v[192:193] offset:20736                   // 000000008330: D89A5100 0000C004
	ds_write_b64 v4, v[194:195] offset:29440                   // 000000008338: D89A7300 0000C204
	ds_write_b64 v4, v[196:197] offset:22912                   // 000000008340: D89A5980 0000C404
	ds_write_b64 v4, v[198:199] offset:31616                   // 000000008348: D89A7B80 0000C604
	ds_write_b64 v4, v[200:201] offset:25088                   // 000000008350: D89A6200 0000C804
	ds_write_b64 v4, v[202:203] offset:33792                   // 000000008358: D89A8400 0000CA04
	ds_write_b64 v4, v[204:205] offset:27264                   // 000000008360: D89A6A80 0000CC04
	ds_write_b64 v4, v[206:207] offset:35968                   // 000000008368: D89A8C80 0000CE04
	s_mov_b32 s80, 0                                           // 000000008370: BED00080
	s_waitcnt vmcnt(0) expcnt(0) lgkmcnt(0)                    // 000000008374: BF8C0000

0000000000008378 <label_155E>:
	s_waitcnt vmcnt(12) lgkmcnt(0)                             // 000000008378: BF8C007C
	s_barrier                                                  // 00000000837C: BF8A0000
	v_mfma_f32_16x16x32_fp8_fp8 v[192:195], a[0:1], v[128:129], 0// 000000008380: D3F300C0 0A030100
	buffer_load_dwordx4 a[64:67], v48, s[12:15], 0 offen       // 000000008388: E05C1000 80834030
	v_mfma_f32_16x16x32_fp8_fp8 v[192:195], a[2:3], v[130:131], v[192:195]// 000000008390: D3F300C0 0F030502
	ds_read_b32 v64, v5 offset:20736                           // 000000008398: D86C5100 40000005
	ds_read_b32 v65, v5 offset:25088                           // 0000000083A0: D86C6200 41000005
	v_mfma_f32_16x16x32_fp8_fp8 v[196:199], a[0:1], v[144:145], 0// 0000000083A8: D3F300C4 0A032100
	buffer_load_dword v24, v6, s[16:19], 0 offen               // 0000000083B0: E0501000 80041806
	v_mfma_f32_16x16x32_fp8_fp8 v[196:199], a[2:3], v[146:147], v[196:199]// 0000000083B8: D3F300C4 0F132502
	ds_read_b32 v66, v5 offset:20768                           // 0000000083C0: D86C5120 42000005
	ds_read_b32 v67, v5 offset:25120                           // 0000000083C8: D86C6220 43000005
	v_mfma_f32_16x16x32_fp8_fp8 v[200:203], a[4:5], v[128:129], 0// 0000000083D0: D3F300C8 0A030104
	buffer_load_dwordx4 a[68:71], v49, s[12:15], 0 offen       // 0000000083D8: E05C1000 80834431
	v_mfma_f32_16x16x32_fp8_fp8 v[200:203], a[6:7], v[130:131], v[200:203]// 0000000083E0: D3F300C8 0F230506
	ds_read_b32 v68, v5 offset:20800                           // 0000000083E8: D86C5140 44000005
	ds_read_b32 v69, v5 offset:25152                           // 0000000083F0: D86C6240 45000005
	v_mfma_f32_16x16x32_fp8_fp8 v[204:207], a[4:5], v[144:145], 0// 0000000083F8: D3F300CC 0A032104
	v_mfma_f32_16x16x32_fp8_fp8 v[204:207], a[6:7], v[146:147], v[204:207]// 000000008400: D3F300CC 0F332506
	ds_read_b32 v70, v5 offset:20832                           // 000000008408: D86C5160 46000005
	ds_read_b32 v71, v5 offset:25184                           // 000000008410: D86C6260 47000005
	v_mfma_f32_16x16x32_fp8_fp8 v[208:211], a[8:9], v[128:129], 0// 000000008418: D3F300D0 0A030108
	buffer_load_dwordx4 a[72:75], v50, s[12:15], 0 offen       // 000000008420: E05C1000 80834832
	v_mfma_f32_16x16x32_fp8_fp8 v[208:211], a[10:11], v[130:131], v[208:211]// 000000008428: D3F300D0 0F43050A
	ds_read_b32 v72, v5 offset:29440                           // 000000008430: D86C7300 48000005
	ds_read_b32 v73, v5 offset:33792                           // 000000008438: D86C8400 49000005
	v_mfma_f32_16x16x32_fp8_fp8 v[212:215], a[8:9], v[144:145], 0// 000000008440: D3F300D4 0A032108
	v_mfma_f32_16x16x32_fp8_fp8 v[212:215], a[10:11], v[146:147], v[212:215]// 000000008448: D3F300D4 0F53250A
	ds_read_b32 v74, v5 offset:29472                           // 000000008450: D86C7320 4A000005
	ds_read_b32 v75, v5 offset:33824                           // 000000008458: D86C8420 4B000005
	v_mfma_f32_16x16x32_fp8_fp8 v[216:219], a[12:13], v[128:129], 0// 000000008460: D3F300D8 0A03010C
	buffer_load_dwordx4 a[76:79], v51, s[12:15], 0 offen       // 000000008468: E05C1000 80834C33
	s_add_u32 s12, s78, s12                                    // 000000008470: 800C0C4E
	s_addc_u32 s13, 0, s13                                     // 000000008474: 820D0D80
	v_mfma_f32_16x16x32_fp8_fp8 v[216:219], a[14:15], v[130:131], v[216:219]// 000000008478: D3F300D8 0F63050E
	ds_read_b32 v76, v5 offset:29504                           // 000000008480: D86C7340 4C000005
	ds_read_b32 v77, v5 offset:33856                           // 000000008488: D86C8440 4D000005
	v_mfma_f32_16x16x32_fp8_fp8 v[220:223], a[12:13], v[144:145], 0// 000000008490: D3F300DC 0A03210C
	v_mfma_f32_16x16x32_fp8_fp8 v[220:223], a[14:15], v[146:147], v[220:223]// 000000008498: D3F300DC 0F73250E
	ds_read_b32 v78, v5 offset:29536                           // 0000000084A0: D86C7360 4E000005
	ds_read_b32 v79, v5 offset:33888                           // 0000000084A8: D86C8460 4F000005
	s_waitcnt vmcnt(13)                                        // 0000000084B0: BF8C0F7D
	v_mfma_f32_16x16x32_fp8_fp8 v[192:195], a[16:17], v[132:133], v[192:195]// 0000000084B4: D3F300C0 0F030910
	buffer_load_dwordx4 a[80:83], v48, s[12:15], 0 offen       // 0000000084BC: E05C1000 80835030
	v_mfma_f32_16x16x32_fp8_fp8 v[192:195], a[18:19], v[134:135], v[192:195]// 0000000084C4: D3F300C0 0F030D12
	v_mfma_f32_16x16x32_fp8_fp8 v[196:199], a[16:17], v[148:149], v[196:199]// 0000000084CC: D3F300C4 0F132910
	v_mfma_f32_16x16x32_fp8_fp8 v[196:199], a[18:19], v[150:151], v[196:199]// 0000000084D4: D3F300C4 0F132D12
	v_mfma_f32_16x16x32_fp8_fp8 v[200:203], a[20:21], v[132:133], v[200:203]// 0000000084DC: D3F300C8 0F230914
	buffer_load_dwordx4 a[84:87], v49, s[12:15], 0 offen       // 0000000084E4: E05C1000 80835431
	v_mfma_f32_16x16x32_fp8_fp8 v[200:203], a[22:23], v[134:135], v[200:203]// 0000000084EC: D3F300C8 0F230D16
	v_mfma_f32_16x16x32_fp8_fp8 v[204:207], a[20:21], v[148:149], v[204:207]// 0000000084F4: D3F300CC 0F332914
	v_mfma_f32_16x16x32_fp8_fp8 v[204:207], a[22:23], v[150:151], v[204:207]// 0000000084FC: D3F300CC 0F332D16
	v_mfma_f32_16x16x32_fp8_fp8 v[208:211], a[24:25], v[132:133], v[208:211]// 000000008504: D3F300D0 0F430918
	buffer_load_dwordx4 a[88:91], v50, s[12:15], 0 offen       // 00000000850C: E05C1000 80835832
	v_mfma_f32_16x16x32_fp8_fp8 v[208:211], a[26:27], v[134:135], v[208:211]// 000000008514: D3F300D0 0F430D1A
	v_mfma_f32_16x16x32_fp8_fp8 v[212:215], a[24:25], v[148:149], v[212:215]// 00000000851C: D3F300D4 0F532918
	v_mfma_f32_16x16x32_fp8_fp8 v[212:215], a[26:27], v[150:151], v[212:215]// 000000008524: D3F300D4 0F532D1A
	v_mfma_f32_16x16x32_fp8_fp8 v[216:219], a[28:29], v[132:133], v[216:219]// 00000000852C: D3F300D8 0F63091C
	buffer_load_dwordx4 a[92:95], v51, s[12:15], 0 offen       // 000000008534: E05C1000 80835C33
	s_add_u32 s12, s78, s12                                    // 00000000853C: 800C0C4E
	s_addc_u32 s13, 0, s13                                     // 000000008540: 820D0D80
	v_mfma_f32_16x16x32_fp8_fp8 v[216:219], a[30:31], v[134:135], v[216:219]// 000000008544: D3F300D8 0F630D1E
	v_mfma_f32_16x16x32_fp8_fp8 v[220:223], a[28:29], v[148:149], v[220:223]// 00000000854C: D3F300DC 0F73291C
	v_mfma_f32_16x16x32_fp8_fp8 v[220:223], a[30:31], v[150:151], v[220:223]// 000000008554: D3F300DC 0F732D1E
	v_mul_f32_dpp v56, v23, v32 row_newbcast:0 row_mask:0xf bank_mask:0xf// 00000000855C: 0A7040FA FF015017
	v_mov_b32_e32 v57, v56                                     // 000000008564: 7E720338
	v_pk_mul_f32 v[192:193], v[56:57], v[192:193]              // 000000008568: D3B140C0 18038138
	v_pk_mul_f32 v[194:195], v[56:57], v[194:195]              // 000000008570: D3B140C2 18038538
	v_pk_mul_f32 v[200:201], v[56:57], v[200:201]              // 000000008578: D3B140C8 18039138
	v_pk_mul_f32 v[202:203], v[56:57], v[202:203]              // 000000008580: D3B140CA 18039538
	v_mul_f32_dpp v56, v23, v32 row_newbcast:1 row_mask:0xf bank_mask:0xf// 000000008588: 0A7040FA FF015117
	v_mov_b32_e32 v57, v56                                     // 000000008590: 7E720338
	v_pk_mul_f32 v[208:209], v[56:57], v[208:209]              // 000000008594: D3B140D0 1803A138
	v_pk_mul_f32 v[210:211], v[56:57], v[210:211]              // 00000000859C: D3B140D2 1803A538
	v_pk_mul_f32 v[216:217], v[56:57], v[216:217]              // 0000000085A4: D3B140D8 1803B138
	v_pk_mul_f32 v[218:219], v[56:57], v[218:219]              // 0000000085AC: D3B140DA 1803B538
	v_mul_f32_dpp v56, v23, v33 row_newbcast:0 row_mask:0xf bank_mask:0xf// 0000000085B4: 0A7042FA FF015017
	v_mov_b32_e32 v57, v56                                     // 0000000085BC: 7E720338
	v_pk_mul_f32 v[196:197], v[56:57], v[196:197]              // 0000000085C0: D3B140C4 18038938
	v_pk_mul_f32 v[198:199], v[56:57], v[198:199]              // 0000000085C8: D3B140C6 18038D38
	v_pk_mul_f32 v[204:205], v[56:57], v[204:205]              // 0000000085D0: D3B140CC 18039938
	v_pk_mul_f32 v[206:207], v[56:57], v[206:207]              // 0000000085D8: D3B140CE 18039D38
	v_mul_f32_dpp v56, v23, v33 row_newbcast:1 row_mask:0xf bank_mask:0xf// 0000000085E0: 0A7042FA FF015117
	v_mov_b32_e32 v57, v56                                     // 0000000085E8: 7E720338
	v_pk_mul_f32 v[212:213], v[56:57], v[212:213]              // 0000000085EC: D3B140D4 1803A938
	v_pk_mul_f32 v[214:215], v[56:57], v[214:215]              // 0000000085F4: D3B140D6 1803AD38
	v_pk_mul_f32 v[220:221], v[56:57], v[220:221]              // 0000000085FC: D3B140DC 1803B938
	v_pk_mul_f32 v[222:223], v[56:57], v[222:223]              // 000000008604: D3B140DE 1803BD38
	s_waitcnt vmcnt(13)                                        // 00000000860C: BF8C0F7D
	v_mfma_f32_16x16x32_fp8_fp8 v[160:163], a[32:33], v[136:137], 0// 000000008610: D3F300A0 0A031120
	buffer_load_dwordx4 a[96:99], v48, s[12:15], 0 offen       // 000000008618: E05C1000 80836030
	v_mfma_f32_16x16x32_fp8_fp8 v[160:163], a[34:35], v[138:139], v[160:163]// 000000008620: D3F300A0 0E831522
	ds_write_b64 v4, v[224:225] offset:38144                   // 000000008628: D89A9500 0000E004
	v_mfma_f32_16x16x32_fp8_fp8 v[164:167], a[32:33], v[152:153], 0// 000000008630: D3F300A4 0A033120
	v_mfma_f32_16x16x32_fp8_fp8 v[164:167], a[34:35], v[154:155], v[164:167]// 000000008638: D3F300A4 0E933522
	ds_write_b64 v4, v[226:227] offset:46848                   // 000000008640: D89AB700 0000E204
	v_mfma_f32_16x16x32_fp8_fp8 v[168:171], a[36:37], v[136:137], 0// 000000008648: D3F300A8 0A031124
	buffer_load_dwordx4 a[100:103], v49, s[12:15], 0 offen     // 000000008650: E05C1000 80836431
	v_mfma_f32_16x16x32_fp8_fp8 v[168:171], a[38:39], v[138:139], v[168:171]// 000000008658: D3F300A8 0EA31526
	ds_write_b64 v4, v[228:229] offset:40320                   // 000000008660: D89A9D80 0000E404
	v_mfma_f32_16x16x32_fp8_fp8 v[172:175], a[36:37], v[152:153], 0// 000000008668: D3F300AC 0A033124
	v_mfma_f32_16x16x32_fp8_fp8 v[172:175], a[38:39], v[154:155], v[172:175]// 000000008670: D3F300AC 0EB33526
	ds_write_b64 v4, v[230:231] offset:49024                   // 000000008678: D89ABF80 0000E604
	v_mfma_f32_16x16x32_fp8_fp8 v[176:179], a[40:41], v[136:137], 0// 000000008680: D3F300B0 0A031128
	buffer_load_dwordx4 a[104:107], v50, s[12:15], 0 offen     // 000000008688: E05C1000 80836832
	v_mfma_f32_16x16x32_fp8_fp8 v[176:179], a[42:43], v[138:139], v[176:179]// 000000008690: D3F300B0 0EC3152A
	ds_write_b64 v4, v[232:233] offset:42496                   // 000000008698: D89AA600 0000E804
	v_mfma_f32_16x16x32_fp8_fp8 v[180:183], a[40:41], v[152:153], 0// 0000000086A0: D3F300B4 0A033128
	v_mfma_f32_16x16x32_fp8_fp8 v[180:183], a[42:43], v[154:155], v[180:183]// 0000000086A8: D3F300B4 0ED3352A
	ds_write_b64 v4, v[234:235] offset:51200                   // 0000000086B0: D89AC800 0000EA04
	v_mfma_f32_16x16x32_fp8_fp8 v[184:187], a[44:45], v[136:137], 0// 0000000086B8: D3F300B8 0A03112C
	buffer_load_dwordx4 a[108:111], v51, s[12:15], 0 offen     // 0000000086C0: E05C1000 80836C33
	s_add_u32 s12, s78, s12                                    // 0000000086C8: 800C0C4E
	s_addc_u32 s13, 0, s13                                     // 0000000086CC: 820D0D80
	v_mfma_f32_16x16x32_fp8_fp8 v[184:187], a[46:47], v[138:139], v[184:187]// 0000000086D0: D3F300B8 0EE3152E
	ds_write_b64 v4, v[236:237] offset:44672                   // 0000000086D8: D89AAE80 0000EC04
	v_mfma_f32_16x16x32_fp8_fp8 v[188:191], a[44:45], v[152:153], 0// 0000000086E0: D3F300BC 0A03312C
	v_mfma_f32_16x16x32_fp8_fp8 v[188:191], a[46:47], v[154:155], v[188:191]// 0000000086E8: D3F300BC 0EF3352E
	ds_write_b64 v4, v[238:239] offset:53376                   // 0000000086F0: D89AD080 0000EE04
	s_waitcnt vmcnt(13)                                        // 0000000086F8: BF8C0F7D
	v_mfma_f32_16x16x32_fp8_fp8 v[160:163], a[48:49], v[140:141], v[160:163]// 0000000086FC: D3F300A0 0E831930
	buffer_load_dwordx4 a[112:115], v48, s[12:15], 0 offen     // 000000008704: E05C1000 80837030
	v_mfma_f32_16x16x32_fp8_fp8 v[160:163], a[50:51], v[142:143], v[160:163]// 00000000870C: D3F300A0 0E831D32
	v_mfma_f32_16x16x32_fp8_fp8 v[164:167], a[48:49], v[156:157], v[164:167]// 000000008714: D3F300A4 0E933930
	v_mfma_f32_16x16x32_fp8_fp8 v[164:167], a[50:51], v[158:159], v[164:167]// 00000000871C: D3F300A4 0E933D32
	v_mfma_f32_16x16x32_fp8_fp8 v[168:171], a[52:53], v[140:141], v[168:171]// 000000008724: D3F300A8 0EA31934
	buffer_load_dwordx4 a[116:119], v49, s[12:15], 0 offen     // 00000000872C: E05C1000 80837431
	v_mfma_f32_16x16x32_fp8_fp8 v[168:171], a[54:55], v[142:143], v[168:171]// 000000008734: D3F300A8 0EA31D36
	v_mfma_f32_16x16x32_fp8_fp8 v[172:175], a[52:53], v[156:157], v[172:175]// 00000000873C: D3F300AC 0EB33934
	v_mfma_f32_16x16x32_fp8_fp8 v[172:175], a[54:55], v[158:159], v[172:175]// 000000008744: D3F300AC 0EB33D36
	v_mfma_f32_16x16x32_fp8_fp8 v[176:179], a[56:57], v[140:141], v[176:179]// 00000000874C: D3F300B0 0EC31938
	buffer_load_dwordx4 a[120:123], v50, s[12:15], 0 offen     // 000000008754: E05C1000 80837832
	v_mfma_f32_16x16x32_fp8_fp8 v[176:179], a[58:59], v[142:143], v[176:179]// 00000000875C: D3F300B0 0EC31D3A
	v_mfma_f32_16x16x32_fp8_fp8 v[180:183], a[56:57], v[156:157], v[180:183]// 000000008764: D3F300B4 0ED33938
	v_mfma_f32_16x16x32_fp8_fp8 v[180:183], a[58:59], v[158:159], v[180:183]// 00000000876C: D3F300B4 0ED33D3A
	v_mfma_f32_16x16x32_fp8_fp8 v[184:187], a[60:61], v[140:141], v[184:187]// 000000008774: D3F300B8 0EE3193C
	buffer_load_dwordx4 a[124:127], v51, s[12:15], 0 offen     // 00000000877C: E05C1000 80837C33
	v_mfma_f32_16x16x32_fp8_fp8 v[184:187], a[62:63], v[142:143], v[184:187]// 000000008784: D3F300B8 0EE31D3E
	v_mfma_f32_16x16x32_fp8_fp8 v[188:191], a[60:61], v[156:157], v[188:191]// 00000000878C: D3F300BC 0EF3393C
	v_mfma_f32_16x16x32_fp8_fp8 v[188:191], a[62:63], v[158:159], v[188:191]// 000000008794: D3F300BC 0EF33D3E
	v_mul_f32_dpp v56, v23, v34 row_newbcast:2 row_mask:0xf bank_mask:0xf// 00000000879C: 0A7044FA FF015217
	v_mov_b32_e32 v57, v56                                     // 0000000087A4: 7E720338
	v_pk_fma_f32 v[192:193], v[160:161], v[56:57], v[192:193]  // 0000000087A8: D3B040C0 1F0271A0
	v_pk_fma_f32 v[194:195], v[162:163], v[56:57], v[194:195]  // 0000000087B0: D3B040C2 1F0A71A2
	v_pk_fma_f32 v[200:201], v[168:169], v[56:57], v[200:201]  // 0000000087B8: D3B040C8 1F2271A8
	v_pk_fma_f32 v[202:203], v[170:171], v[56:57], v[202:203]  // 0000000087C0: D3B040CA 1F2A71AA
	v_mul_f32_dpp v56, v23, v34 row_newbcast:3 row_mask:0xf bank_mask:0xf// 0000000087C8: 0A7044FA FF015317
	v_mov_b32_e32 v57, v56                                     // 0000000087D0: 7E720338
	v_pk_fma_f32 v[208:209], v[176:177], v[56:57], v[208:209]  // 0000000087D4: D3B040D0 1F4271B0
	v_pk_fma_f32 v[210:211], v[178:179], v[56:57], v[210:211]  // 0000000087DC: D3B040D2 1F4A71B2
	v_pk_fma_f32 v[216:217], v[184:185], v[56:57], v[216:217]  // 0000000087E4: D3B040D8 1F6271B8
	v_pk_fma_f32 v[218:219], v[186:187], v[56:57], v[218:219]  // 0000000087EC: D3B040DA 1F6A71BA
	v_mul_f32_dpp v56, v23, v35 row_newbcast:2 row_mask:0xf bank_mask:0xf// 0000000087F4: 0A7046FA FF015217
	v_mov_b32_e32 v57, v56                                     // 0000000087FC: 7E720338
	v_pk_fma_f32 v[196:197], v[164:165], v[56:57], v[196:197]  // 000000008800: D3B040C4 1F1271A4
	v_pk_fma_f32 v[198:199], v[166:167], v[56:57], v[198:199]  // 000000008808: D3B040C6 1F1A71A6
	v_pk_fma_f32 v[204:205], v[172:173], v[56:57], v[204:205]  // 000000008810: D3B040CC 1F3271AC
	v_pk_fma_f32 v[206:207], v[174:175], v[56:57], v[206:207]  // 000000008818: D3B040CE 1F3A71AE
	v_mul_f32_dpp v56, v23, v35 row_newbcast:3 row_mask:0xf bank_mask:0xf// 000000008820: 0A7046FA FF015317
	v_mov_b32_e32 v57, v56                                     // 000000008828: 7E720338
	v_pk_fma_f32 v[212:213], v[180:181], v[56:57], v[212:213]  // 00000000882C: D3B040D4 1F5271B4
	v_pk_fma_f32 v[214:215], v[182:183], v[56:57], v[214:215]  // 000000008834: D3B040D6 1F5A71B6
	v_pk_fma_f32 v[220:221], v[188:189], v[56:57], v[220:221]  // 00000000883C: D3B040DC 1F7271BC
	v_pk_fma_f32 v[222:223], v[190:191], v[56:57], v[222:223]  // 000000008844: D3B040DE 1F7A71BE
	s_add_u32 s60, 0x200, s80                                  // 00000000884C: 803C50FF 00000200
	s_cmp_lt_u32 s60, s81                                      // 000000008854: BF0A513C
	s_cselect_b32 s56, s56, 0                                  // 000000008858: 85388038
	s_cselect_b32 s78, s78, 0                                  // 00000000885C: 854E804E
	s_cselect_b32 s79, s79, 0                                  // 000000008860: 854F804F
	s_add_u32 s12, s56, s12                                    // 000000008864: 800C0C38
	s_addc_u32 s13, 0, s13                                     // 000000008868: 820D0D80
	s_add_u32 s16, s79, s16                                    // 00000000886C: 8010104F
	s_addc_u32 s17, 0, s17                                     // 000000008870: 82111180
	v_mov_b32_e32 v56, v25                                     // 000000008874: 7E700319
	v_mov_b32_e32 v57, v25                                     // 000000008878: 7E720319
	v_pk_mul_f32 v[192:193], v[56:57], v[192:193]              // 00000000887C: D3B140C0 18038138
	v_pk_mul_f32 v[194:195], v[56:57], v[194:195]              // 000000008884: D3B140C2 18038538
	v_pk_mul_f32 v[200:201], v[56:57], v[200:201]              // 00000000888C: D3B140C8 18039138
	v_pk_mul_f32 v[202:203], v[56:57], v[202:203]              // 000000008894: D3B140CA 18039538
	v_pk_mul_f32 v[208:209], v[56:57], v[208:209]              // 00000000889C: D3B140D0 1803A138
	v_pk_mul_f32 v[210:211], v[56:57], v[210:211]              // 0000000088A4: D3B140D2 1803A538
	v_pk_mul_f32 v[216:217], v[56:57], v[216:217]              // 0000000088AC: D3B140D8 1803B138
	v_pk_mul_f32 v[218:219], v[56:57], v[218:219]              // 0000000088B4: D3B140DA 1803B538
	v_mov_b32_e32 v56, v26                                     // 0000000088BC: 7E70031A
	v_mov_b32_e32 v57, v26                                     // 0000000088C0: 7E72031A
	v_pk_mul_f32 v[196:197], v[56:57], v[196:197]              // 0000000088C4: D3B140C4 18038938
	v_pk_mul_f32 v[198:199], v[56:57], v[198:199]              // 0000000088CC: D3B140C6 18038D38
	v_pk_mul_f32 v[204:205], v[56:57], v[204:205]              // 0000000088D4: D3B140CC 18039938
	v_pk_mul_f32 v[206:207], v[56:57], v[206:207]              // 0000000088DC: D3B140CE 18039D38
	v_pk_mul_f32 v[212:213], v[56:57], v[212:213]              // 0000000088E4: D3B140D4 1803A938
	v_pk_mul_f32 v[214:215], v[56:57], v[214:215]              // 0000000088EC: D3B140D6 1803AD38
	v_pk_mul_f32 v[220:221], v[56:57], v[220:221]              // 0000000088F4: D3B140DC 1803B938
	v_pk_mul_f32 v[222:223], v[56:57], v[222:223]              // 0000000088FC: D3B140DE 1803BD38
	v_cvt_pkrtz_f16_f32 v192, v192, v193                       // 000000008904: D29600C0 000383C0
	v_cvt_pkrtz_f16_f32 v193, v194, v195                       // 00000000890C: D29600C1 000387C2
	v_cvt_pkrtz_f16_f32 v194, v196, v197                       // 000000008914: D29600C2 00038BC4
	v_cvt_pkrtz_f16_f32 v195, v198, v199                       // 00000000891C: D29600C3 00038FC6
	v_cvt_pkrtz_f16_f32 v196, v200, v201                       // 000000008924: D29600C4 000393C8
	v_cvt_pkrtz_f16_f32 v197, v202, v203                       // 00000000892C: D29600C5 000397CA
	v_cvt_pkrtz_f16_f32 v198, v204, v205                       // 000000008934: D29600C6 00039BCC
	v_cvt_pkrtz_f16_f32 v199, v206, v207                       // 00000000893C: D29600C7 00039FCE
	v_cvt_pkrtz_f16_f32 v200, v208, v209                       // 000000008944: D29600C8 0003A3D0
	v_cvt_pkrtz_f16_f32 v201, v210, v211                       // 00000000894C: D29600C9 0003A7D2
	v_cvt_pkrtz_f16_f32 v202, v212, v213                       // 000000008954: D29600CA 0003ABD4
	v_cvt_pkrtz_f16_f32 v203, v214, v215                       // 00000000895C: D29600CB 0003AFD6
	v_cvt_pkrtz_f16_f32 v204, v216, v217                       // 000000008964: D29600CC 0003B3D8
	v_cvt_pkrtz_f16_f32 v205, v218, v219                       // 00000000896C: D29600CD 0003B7DA
	v_cvt_pkrtz_f16_f32 v206, v220, v221                       // 000000008974: D29600CE 0003BBDC
	v_cvt_pkrtz_f16_f32 v207, v222, v223                       // 00000000897C: D29600CF 0003BFDE
	s_cmp_ge_u32 s80, 0x200                                    // 000000008984: BF09FF50 00000200
	s_cselect_b32 s59, 0x200, s59                              // 00000000898C: 853B3BFF 00000200
	s_setvskip s20, 0                                          // 000000008994: BF108014
	global_atomic_pk_add_f16 v80, v64, s[8:9]                  // 000000008998: DD388000 00084050
	s_setvskip 0, 0                                            // 0000000089A0: BF108080
	s_setvskip s20, 0                                          // 0000000089A4: BF108014
	global_atomic_pk_add_f16 v80, v65, s[8:9] offset:256       // 0000000089A8: DD388100 00084150
	s_setvskip 0, 0                                            // 0000000089B0: BF108080
	s_setvskip s20, 1                                          // 0000000089B4: BF108114
	global_atomic_pk_add_f16 v82, v66, s[8:9]                  // 0000000089B8: DD388000 00084252
	s_setvskip 0, 0                                            // 0000000089C0: BF108080
	s_setvskip s20, 1                                          // 0000000089C4: BF108114
	global_atomic_pk_add_f16 v82, v67, s[8:9] offset:256       // 0000000089C8: DD388100 00084352
	s_setvskip 0, 0                                            // 0000000089D0: BF108080
	s_setvskip s20, 2                                          // 0000000089D4: BF108214
	global_atomic_pk_add_f16 v84, v68, s[8:9]                  // 0000000089D8: DD388000 00084454
	s_setvskip 0, 0                                            // 0000000089E0: BF108080
	s_setvskip s20, 2                                          // 0000000089E4: BF108214
	global_atomic_pk_add_f16 v84, v69, s[8:9] offset:256       // 0000000089E8: DD388100 00084554
	s_setvskip 0, 0                                            // 0000000089F0: BF108080
	s_setvskip s20, 3                                          // 0000000089F4: BF108314
	global_atomic_pk_add_f16 v86, v70, s[8:9]                  // 0000000089F8: DD388000 00084656
	s_setvskip 0, 0                                            // 000000008A00: BF108080
	s_setvskip s20, 3                                          // 000000008A04: BF108314
	global_atomic_pk_add_f16 v86, v71, s[8:9] offset:256       // 000000008A08: DD388100 00084756
	s_setvskip 0, 0                                            // 000000008A10: BF108080
	s_setvskip s20, 4                                          // 000000008A14: BF108414
	global_atomic_pk_add_f16 v88, v72, s[8:9]                  // 000000008A18: DD388000 00084858
	s_setvskip 0, 0                                            // 000000008A20: BF108080
	s_setvskip s20, 4                                          // 000000008A24: BF108414
	global_atomic_pk_add_f16 v88, v73, s[8:9] offset:256       // 000000008A28: DD388100 00084958
	s_setvskip 0, 0                                            // 000000008A30: BF108080
	s_setvskip s20, 5                                          // 000000008A34: BF108514
	global_atomic_pk_add_f16 v90, v74, s[8:9]                  // 000000008A38: DD388000 00084A5A
	s_setvskip 0, 0                                            // 000000008A40: BF108080
	s_setvskip s20, 5                                          // 000000008A44: BF108514
	global_atomic_pk_add_f16 v90, v75, s[8:9] offset:256       // 000000008A48: DD388100 00084B5A
	s_setvskip 0, 0                                            // 000000008A50: BF108080
	s_setvskip s20, 6                                          // 000000008A54: BF108614
	global_atomic_pk_add_f16 v92, v76, s[8:9]                  // 000000008A58: DD388000 00084C5C
	s_setvskip 0, 0                                            // 000000008A60: BF108080
	s_setvskip s20, 6                                          // 000000008A64: BF108614
	global_atomic_pk_add_f16 v92, v77, s[8:9] offset:256       // 000000008A68: DD388100 00084D5C
	s_setvskip 0, 0                                            // 000000008A70: BF108080
	s_setvskip s20, 7                                          // 000000008A74: BF108714
	global_atomic_pk_add_f16 v94, v78, s[8:9]                  // 000000008A78: DD388000 00084E5E
	s_setvskip 0, 0                                            // 000000008A80: BF108080
	s_setvskip s20, 7                                          // 000000008A84: BF108714
	global_atomic_pk_add_f16 v94, v79, s[8:9] offset:256       // 000000008A88: DD388100 00084F5E
	s_setvskip 0, 0                                            // 000000008A90: BF108080
	s_add_u32 s8, s59, s8                                      // 000000008A94: 8008083B
	s_addc_u32 s9, 0, s9                                       // 000000008A98: 82090980
	s_addk_i32 s80, 0x100                                      // 000000008A9C: B7500100
	s_cmp_lt_i32 s80, s81                                      // 000000008AA0: BF045150
	s_cbranch_scc0 label_0DC9                                  // 000000008AA4: BF84F69F
	s_waitcnt vmcnt(12) lgkmcnt(0)                             // 000000008AA8: BF8C007C
	s_barrier                                                  // 000000008AAC: BF8A0000
	v_mfma_f32_16x16x32_fp8_fp8 v[224:227], a[64:65], v[128:129], 0// 000000008AB0: D3F300E0 0A030140
	buffer_load_dwordx4 a[0:3], v48, s[12:15], 0 offen         // 000000008AB8: E05C1000 80830030
	v_mfma_f32_16x16x32_fp8_fp8 v[224:227], a[66:67], v[130:131], v[224:227]// 000000008AC0: D3F300E0 0F830542
	ds_read_b32 v64, v5 offset:38144                           // 000000008AC8: D86C9500 40000005
	ds_read_b32 v65, v5 offset:42496                           // 000000008AD0: D86CA600 41000005
	v_mfma_f32_16x16x32_fp8_fp8 v[228:231], a[64:65], v[144:145], 0// 000000008AD8: D3F300E4 0A032140
	buffer_load_dword v23, v6, s[16:19], 0 offen               // 000000008AE0: E0501000 80041706
	v_mfma_f32_16x16x32_fp8_fp8 v[228:231], a[66:67], v[146:147], v[228:231]// 000000008AE8: D3F300E4 0F932542
	ds_read_b32 v66, v5 offset:38176                           // 000000008AF0: D86C9520 42000005
	ds_read_b32 v67, v5 offset:42528                           // 000000008AF8: D86CA620 43000005
	v_mfma_f32_16x16x32_fp8_fp8 v[232:235], a[68:69], v[128:129], 0// 000000008B00: D3F300E8 0A030144
	buffer_load_dwordx4 a[4:7], v49, s[12:15], 0 offen         // 000000008B08: E05C1000 80830431
	v_mfma_f32_16x16x32_fp8_fp8 v[232:235], a[70:71], v[130:131], v[232:235]// 000000008B10: D3F300E8 0FA30546
	ds_read_b32 v68, v5 offset:38208                           // 000000008B18: D86C9540 44000005
	ds_read_b32 v69, v5 offset:42560                           // 000000008B20: D86CA640 45000005
	v_mfma_f32_16x16x32_fp8_fp8 v[236:239], a[68:69], v[144:145], 0// 000000008B28: D3F300EC 0A032144
	v_mfma_f32_16x16x32_fp8_fp8 v[236:239], a[70:71], v[146:147], v[236:239]// 000000008B30: D3F300EC 0FB32546
	ds_read_b32 v70, v5 offset:38240                           // 000000008B38: D86C9560 46000005
	ds_read_b32 v71, v5 offset:42592                           // 000000008B40: D86CA660 47000005
	v_mfma_f32_16x16x32_fp8_fp8 v[240:243], a[72:73], v[128:129], 0// 000000008B48: D3F300F0 0A030148
	buffer_load_dwordx4 a[8:11], v50, s[12:15], 0 offen        // 000000008B50: E05C1000 80830832
	v_mfma_f32_16x16x32_fp8_fp8 v[240:243], a[74:75], v[130:131], v[240:243]// 000000008B58: D3F300F0 0FC3054A
	ds_read_b32 v72, v5 offset:46848                           // 000000008B60: D86CB700 48000005
	ds_read_b32 v73, v5 offset:51200                           // 000000008B68: D86CC800 49000005
	v_mfma_f32_16x16x32_fp8_fp8 v[244:247], a[72:73], v[144:145], 0// 000000008B70: D3F300F4 0A032148
	v_mfma_f32_16x16x32_fp8_fp8 v[244:247], a[74:75], v[146:147], v[244:247]// 000000008B78: D3F300F4 0FD3254A
	ds_read_b32 v74, v5 offset:46880                           // 000000008B80: D86CB720 4A000005
	ds_read_b32 v75, v5 offset:51232                           // 000000008B88: D86CC820 4B000005
	v_mfma_f32_16x16x32_fp8_fp8 v[248:251], a[76:77], v[128:129], 0// 000000008B90: D3F300F8 0A03014C
	buffer_load_dwordx4 a[12:15], v51, s[12:15], 0 offen       // 000000008B98: E05C1000 80830C33
	s_add_u32 s12, s78, s12                                    // 000000008BA0: 800C0C4E
	s_addc_u32 s13, 0, s13                                     // 000000008BA4: 820D0D80
	v_mfma_f32_16x16x32_fp8_fp8 v[248:251], a[78:79], v[130:131], v[248:251]// 000000008BA8: D3F300F8 0FE3054E
	ds_read_b32 v76, v5 offset:46912                           // 000000008BB0: D86CB740 4C000005
	ds_read_b32 v77, v5 offset:51264                           // 000000008BB8: D86CC840 4D000005
	v_mfma_f32_16x16x32_fp8_fp8 v[252:255], a[76:77], v[144:145], 0// 000000008BC0: D3F300FC 0A03214C
	v_mfma_f32_16x16x32_fp8_fp8 v[252:255], a[78:79], v[146:147], v[252:255]// 000000008BC8: D3F300FC 0FF3254E
	ds_read_b32 v78, v5 offset:46944                           // 000000008BD0: D86CB760 4E000005
	ds_read_b32 v79, v5 offset:51296                           // 000000008BD8: D86CC860 4F000005
	s_waitcnt vmcnt(13)                                        // 000000008BE0: BF8C0F7D
	v_mfma_f32_16x16x32_fp8_fp8 v[224:227], a[80:81], v[132:133], v[224:227]// 000000008BE4: D3F300E0 0F830950
	buffer_load_dwordx4 a[16:19], v48, s[12:15], 0 offen       // 000000008BEC: E05C1000 80831030
	v_mfma_f32_16x16x32_fp8_fp8 v[224:227], a[82:83], v[134:135], v[224:227]// 000000008BF4: D3F300E0 0F830D52
	v_mfma_f32_16x16x32_fp8_fp8 v[228:231], a[80:81], v[148:149], v[228:231]// 000000008BFC: D3F300E4 0F932950
	v_mfma_f32_16x16x32_fp8_fp8 v[228:231], a[82:83], v[150:151], v[228:231]// 000000008C04: D3F300E4 0F932D52
	v_mfma_f32_16x16x32_fp8_fp8 v[232:235], a[84:85], v[132:133], v[232:235]// 000000008C0C: D3F300E8 0FA30954
	buffer_load_dwordx4 a[20:23], v49, s[12:15], 0 offen       // 000000008C14: E05C1000 80831431
	v_mfma_f32_16x16x32_fp8_fp8 v[232:235], a[86:87], v[134:135], v[232:235]// 000000008C1C: D3F300E8 0FA30D56
	v_mfma_f32_16x16x32_fp8_fp8 v[236:239], a[84:85], v[148:149], v[236:239]// 000000008C24: D3F300EC 0FB32954
	v_mfma_f32_16x16x32_fp8_fp8 v[236:239], a[86:87], v[150:151], v[236:239]// 000000008C2C: D3F300EC 0FB32D56
	v_mfma_f32_16x16x32_fp8_fp8 v[240:243], a[88:89], v[132:133], v[240:243]// 000000008C34: D3F300F0 0FC30958
	buffer_load_dwordx4 a[24:27], v50, s[12:15], 0 offen       // 000000008C3C: E05C1000 80831832
	v_mfma_f32_16x16x32_fp8_fp8 v[240:243], a[90:91], v[134:135], v[240:243]// 000000008C44: D3F300F0 0FC30D5A
	v_mfma_f32_16x16x32_fp8_fp8 v[244:247], a[88:89], v[148:149], v[244:247]// 000000008C4C: D3F300F4 0FD32958
	v_mfma_f32_16x16x32_fp8_fp8 v[244:247], a[90:91], v[150:151], v[244:247]// 000000008C54: D3F300F4 0FD32D5A
	v_mfma_f32_16x16x32_fp8_fp8 v[248:251], a[92:93], v[132:133], v[248:251]// 000000008C5C: D3F300F8 0FE3095C
	buffer_load_dwordx4 a[28:31], v51, s[12:15], 0 offen       // 000000008C64: E05C1000 80831C33
	s_add_u32 s12, s78, s12                                    // 000000008C6C: 800C0C4E
	s_addc_u32 s13, 0, s13                                     // 000000008C70: 820D0D80
	v_mfma_f32_16x16x32_fp8_fp8 v[248:251], a[94:95], v[134:135], v[248:251]// 000000008C74: D3F300F8 0FE30D5E
	v_mfma_f32_16x16x32_fp8_fp8 v[252:255], a[92:93], v[148:149], v[252:255]// 000000008C7C: D3F300FC 0FF3295C
	v_mfma_f32_16x16x32_fp8_fp8 v[252:255], a[94:95], v[150:151], v[252:255]// 000000008C84: D3F300FC 0FF32D5E
	v_mul_f32_dpp v56, v24, v32 row_newbcast:0 row_mask:0xf bank_mask:0xf// 000000008C8C: 0A7040FA FF015018
	v_mov_b32_e32 v57, v56                                     // 000000008C94: 7E720338
	v_pk_mul_f32 v[224:225], v[56:57], v[224:225]              // 000000008C98: D3B140E0 1803C138
	v_pk_mul_f32 v[226:227], v[56:57], v[226:227]              // 000000008CA0: D3B140E2 1803C538
	v_pk_mul_f32 v[232:233], v[56:57], v[232:233]              // 000000008CA8: D3B140E8 1803D138
	v_pk_mul_f32 v[234:235], v[56:57], v[234:235]              // 000000008CB0: D3B140EA 1803D538
	v_mul_f32_dpp v56, v24, v32 row_newbcast:1 row_mask:0xf bank_mask:0xf// 000000008CB8: 0A7040FA FF015118
	v_mov_b32_e32 v57, v56                                     // 000000008CC0: 7E720338
	v_pk_mul_f32 v[240:241], v[56:57], v[240:241]              // 000000008CC4: D3B140F0 1803E138
	v_pk_mul_f32 v[242:243], v[56:57], v[242:243]              // 000000008CCC: D3B140F2 1803E538
	v_pk_mul_f32 v[248:249], v[56:57], v[248:249]              // 000000008CD4: D3B140F8 1803F138
	v_pk_mul_f32 v[250:251], v[56:57], v[250:251]              // 000000008CDC: D3B140FA 1803F538
	v_mul_f32_dpp v56, v24, v33 row_newbcast:0 row_mask:0xf bank_mask:0xf// 000000008CE4: 0A7042FA FF015018
	v_mov_b32_e32 v57, v56                                     // 000000008CEC: 7E720338
	v_pk_mul_f32 v[228:229], v[56:57], v[228:229]              // 000000008CF0: D3B140E4 1803C938
	v_pk_mul_f32 v[230:231], v[56:57], v[230:231]              // 000000008CF8: D3B140E6 1803CD38
	v_pk_mul_f32 v[236:237], v[56:57], v[236:237]              // 000000008D00: D3B140EC 1803D938
	v_pk_mul_f32 v[238:239], v[56:57], v[238:239]              // 000000008D08: D3B140EE 1803DD38
	v_mul_f32_dpp v56, v24, v33 row_newbcast:1 row_mask:0xf bank_mask:0xf// 000000008D10: 0A7042FA FF015118
	v_mov_b32_e32 v57, v56                                     // 000000008D18: 7E720338
	v_pk_mul_f32 v[244:245], v[56:57], v[244:245]              // 000000008D1C: D3B140F4 1803E938
	v_pk_mul_f32 v[246:247], v[56:57], v[246:247]              // 000000008D24: D3B140F6 1803ED38
	v_pk_mul_f32 v[252:253], v[56:57], v[252:253]              // 000000008D2C: D3B140FC 1803F938
	v_pk_mul_f32 v[254:255], v[56:57], v[254:255]              // 000000008D34: D3B140FE 1803FD38
	s_waitcnt vmcnt(13)                                        // 000000008D3C: BF8C0F7D
	v_mfma_f32_16x16x32_fp8_fp8 v[160:163], a[96:97], v[136:137], 0// 000000008D40: D3F300A0 0A031160
	buffer_load_dwordx4 a[32:35], v48, s[12:15], 0 offen       // 000000008D48: E05C1000 80832030
	v_mfma_f32_16x16x32_fp8_fp8 v[160:163], a[98:99], v[138:139], v[160:163]// 000000008D50: D3F300A0 0E831562
	ds_write_b64 v4, v[192:193] offset:20736                   // 000000008D58: D89A5100 0000C004
	v_mfma_f32_16x16x32_fp8_fp8 v[164:167], a[96:97], v[152:153], 0// 000000008D60: D3F300A4 0A033160
	v_mfma_f32_16x16x32_fp8_fp8 v[164:167], a[98:99], v[154:155], v[164:167]// 000000008D68: D3F300A4 0E933562
	ds_write_b64 v4, v[194:195] offset:29440                   // 000000008D70: D89A7300 0000C204
	v_mfma_f32_16x16x32_fp8_fp8 v[168:171], a[100:101], v[136:137], 0// 000000008D78: D3F300A8 0A031164
	buffer_load_dwordx4 a[36:39], v49, s[12:15], 0 offen       // 000000008D80: E05C1000 80832431
	v_mfma_f32_16x16x32_fp8_fp8 v[168:171], a[102:103], v[138:139], v[168:171]// 000000008D88: D3F300A8 0EA31566
	ds_write_b64 v4, v[196:197] offset:22912                   // 000000008D90: D89A5980 0000C404
	v_mfma_f32_16x16x32_fp8_fp8 v[172:175], a[100:101], v[152:153], 0// 000000008D98: D3F300AC 0A033164
	v_mfma_f32_16x16x32_fp8_fp8 v[172:175], a[102:103], v[154:155], v[172:175]// 000000008DA0: D3F300AC 0EB33566
	ds_write_b64 v4, v[198:199] offset:31616                   // 000000008DA8: D89A7B80 0000C604
	v_mfma_f32_16x16x32_fp8_fp8 v[176:179], a[104:105], v[136:137], 0// 000000008DB0: D3F300B0 0A031168
	buffer_load_dwordx4 a[40:43], v50, s[12:15], 0 offen       // 000000008DB8: E05C1000 80832832
	v_mfma_f32_16x16x32_fp8_fp8 v[176:179], a[106:107], v[138:139], v[176:179]// 000000008DC0: D3F300B0 0EC3156A
	ds_write_b64 v4, v[200:201] offset:25088                   // 000000008DC8: D89A6200 0000C804
	v_mfma_f32_16x16x32_fp8_fp8 v[180:183], a[104:105], v[152:153], 0// 000000008DD0: D3F300B4 0A033168
	v_mfma_f32_16x16x32_fp8_fp8 v[180:183], a[106:107], v[154:155], v[180:183]// 000000008DD8: D3F300B4 0ED3356A
	ds_write_b64 v4, v[202:203] offset:33792                   // 000000008DE0: D89A8400 0000CA04
	v_mfma_f32_16x16x32_fp8_fp8 v[184:187], a[108:109], v[136:137], 0// 000000008DE8: D3F300B8 0A03116C
	buffer_load_dwordx4 a[44:47], v51, s[12:15], 0 offen       // 000000008DF0: E05C1000 80832C33
	s_add_u32 s12, s78, s12                                    // 000000008DF8: 800C0C4E
	s_addc_u32 s13, 0, s13                                     // 000000008DFC: 820D0D80
	v_mfma_f32_16x16x32_fp8_fp8 v[184:187], a[110:111], v[138:139], v[184:187]// 000000008E00: D3F300B8 0EE3156E
	ds_write_b64 v4, v[204:205] offset:27264                   // 000000008E08: D89A6A80 0000CC04
	v_mfma_f32_16x16x32_fp8_fp8 v[188:191], a[108:109], v[152:153], 0// 000000008E10: D3F300BC 0A03316C
	v_mfma_f32_16x16x32_fp8_fp8 v[188:191], a[110:111], v[154:155], v[188:191]// 000000008E18: D3F300BC 0EF3356E
	ds_write_b64 v4, v[206:207] offset:35968                   // 000000008E20: D89A8C80 0000CE04
	s_waitcnt vmcnt(13)                                        // 000000008E28: BF8C0F7D
	v_mfma_f32_16x16x32_fp8_fp8 v[160:163], a[112:113], v[140:141], v[160:163]// 000000008E2C: D3F300A0 0E831970
	buffer_load_dwordx4 a[48:51], v48, s[12:15], 0 offen       // 000000008E34: E05C1000 80833030
	v_mfma_f32_16x16x32_fp8_fp8 v[160:163], a[114:115], v[142:143], v[160:163]// 000000008E3C: D3F300A0 0E831D72
	v_mfma_f32_16x16x32_fp8_fp8 v[164:167], a[112:113], v[156:157], v[164:167]// 000000008E44: D3F300A4 0E933970
	v_mfma_f32_16x16x32_fp8_fp8 v[164:167], a[114:115], v[158:159], v[164:167]// 000000008E4C: D3F300A4 0E933D72
	v_mfma_f32_16x16x32_fp8_fp8 v[168:171], a[116:117], v[140:141], v[168:171]// 000000008E54: D3F300A8 0EA31974
	buffer_load_dwordx4 a[52:55], v49, s[12:15], 0 offen       // 000000008E5C: E05C1000 80833431
	v_mfma_f32_16x16x32_fp8_fp8 v[168:171], a[118:119], v[142:143], v[168:171]// 000000008E64: D3F300A8 0EA31D76
	v_mfma_f32_16x16x32_fp8_fp8 v[172:175], a[116:117], v[156:157], v[172:175]// 000000008E6C: D3F300AC 0EB33974
	v_mfma_f32_16x16x32_fp8_fp8 v[172:175], a[118:119], v[158:159], v[172:175]// 000000008E74: D3F300AC 0EB33D76
	v_mfma_f32_16x16x32_fp8_fp8 v[176:179], a[120:121], v[140:141], v[176:179]// 000000008E7C: D3F300B0 0EC31978
	buffer_load_dwordx4 a[56:59], v50, s[12:15], 0 offen       // 000000008E84: E05C1000 80833832
	v_mfma_f32_16x16x32_fp8_fp8 v[176:179], a[122:123], v[142:143], v[176:179]// 000000008E8C: D3F300B0 0EC31D7A
	v_mfma_f32_16x16x32_fp8_fp8 v[180:183], a[120:121], v[156:157], v[180:183]// 000000008E94: D3F300B4 0ED33978
	v_mfma_f32_16x16x32_fp8_fp8 v[180:183], a[122:123], v[158:159], v[180:183]// 000000008E9C: D3F300B4 0ED33D7A
	v_mfma_f32_16x16x32_fp8_fp8 v[184:187], a[124:125], v[140:141], v[184:187]// 000000008EA4: D3F300B8 0EE3197C
	buffer_load_dwordx4 a[60:63], v51, s[12:15], 0 offen       // 000000008EAC: E05C1000 80833C33
	v_mfma_f32_16x16x32_fp8_fp8 v[184:187], a[126:127], v[142:143], v[184:187]// 000000008EB4: D3F300B8 0EE31D7E
	v_mfma_f32_16x16x32_fp8_fp8 v[188:191], a[124:125], v[156:157], v[188:191]// 000000008EBC: D3F300BC 0EF3397C
	v_mfma_f32_16x16x32_fp8_fp8 v[188:191], a[126:127], v[158:159], v[188:191]// 000000008EC4: D3F300BC 0EF33D7E
	v_mul_f32_dpp v56, v24, v34 row_newbcast:2 row_mask:0xf bank_mask:0xf// 000000008ECC: 0A7044FA FF015218
	v_mov_b32_e32 v57, v56                                     // 000000008ED4: 7E720338
	v_pk_fma_f32 v[224:225], v[160:161], v[56:57], v[224:225]  // 000000008ED8: D3B040E0 1F8271A0
	v_pk_fma_f32 v[226:227], v[162:163], v[56:57], v[226:227]  // 000000008EE0: D3B040E2 1F8A71A2
	v_pk_fma_f32 v[232:233], v[168:169], v[56:57], v[232:233]  // 000000008EE8: D3B040E8 1FA271A8
	v_pk_fma_f32 v[234:235], v[170:171], v[56:57], v[234:235]  // 000000008EF0: D3B040EA 1FAA71AA
	v_mul_f32_dpp v56, v24, v34 row_newbcast:3 row_mask:0xf bank_mask:0xf// 000000008EF8: 0A7044FA FF015318
	v_mov_b32_e32 v57, v56                                     // 000000008F00: 7E720338
	v_pk_fma_f32 v[240:241], v[176:177], v[56:57], v[240:241]  // 000000008F04: D3B040F0 1FC271B0
	v_pk_fma_f32 v[242:243], v[178:179], v[56:57], v[242:243]  // 000000008F0C: D3B040F2 1FCA71B2
	v_pk_fma_f32 v[248:249], v[184:185], v[56:57], v[248:249]  // 000000008F14: D3B040F8 1FE271B8
	v_pk_fma_f32 v[250:251], v[186:187], v[56:57], v[250:251]  // 000000008F1C: D3B040FA 1FEA71BA
	v_mul_f32_dpp v56, v24, v35 row_newbcast:2 row_mask:0xf bank_mask:0xf// 000000008F24: 0A7046FA FF015218
	v_mov_b32_e32 v57, v56                                     // 000000008F2C: 7E720338
	v_pk_fma_f32 v[228:229], v[164:165], v[56:57], v[228:229]  // 000000008F30: D3B040E4 1F9271A4
	v_pk_fma_f32 v[230:231], v[166:167], v[56:57], v[230:231]  // 000000008F38: D3B040E6 1F9A71A6
	v_pk_fma_f32 v[236:237], v[172:173], v[56:57], v[236:237]  // 000000008F40: D3B040EC 1FB271AC
	v_pk_fma_f32 v[238:239], v[174:175], v[56:57], v[238:239]  // 000000008F48: D3B040EE 1FBA71AE
	v_mul_f32_dpp v56, v24, v35 row_newbcast:3 row_mask:0xf bank_mask:0xf// 000000008F50: 0A7046FA FF015318
	v_mov_b32_e32 v57, v56                                     // 000000008F58: 7E720338
	v_pk_fma_f32 v[244:245], v[180:181], v[56:57], v[244:245]  // 000000008F5C: D3B040F4 1FD271B4
	v_pk_fma_f32 v[246:247], v[182:183], v[56:57], v[246:247]  // 000000008F64: D3B040F6 1FDA71B6
	v_pk_fma_f32 v[252:253], v[188:189], v[56:57], v[252:253]  // 000000008F6C: D3B040FC 1FF271BC
	v_pk_fma_f32 v[254:255], v[190:191], v[56:57], v[254:255]  // 000000008F74: D3B040FE 1FFA71BE
	s_add_u32 s60, 0x200, s80                                  // 000000008F7C: 803C50FF 00000200
	s_cmp_lt_u32 s60, s81                                      // 000000008F84: BF0A513C
	s_cselect_b32 s56, s56, 0                                  // 000000008F88: 85388038
	s_cselect_b32 s78, s78, 0                                  // 000000008F8C: 854E804E
	s_cselect_b32 s79, s79, 0                                  // 000000008F90: 854F804F
	s_add_u32 s12, s56, s12                                    // 000000008F94: 800C0C38
	s_addc_u32 s13, 0, s13                                     // 000000008F98: 820D0D80
	s_add_u32 s16, s79, s16                                    // 000000008F9C: 8010104F
	s_addc_u32 s17, 0, s17                                     // 000000008FA0: 82111180
	v_mov_b32_e32 v56, v25                                     // 000000008FA4: 7E700319
	v_mov_b32_e32 v57, v25                                     // 000000008FA8: 7E720319
	v_pk_mul_f32 v[224:225], v[56:57], v[224:225]              // 000000008FAC: D3B140E0 1803C138
	v_pk_mul_f32 v[226:227], v[56:57], v[226:227]              // 000000008FB4: D3B140E2 1803C538
	v_pk_mul_f32 v[232:233], v[56:57], v[232:233]              // 000000008FBC: D3B140E8 1803D138
	v_pk_mul_f32 v[234:235], v[56:57], v[234:235]              // 000000008FC4: D3B140EA 1803D538
	v_pk_mul_f32 v[240:241], v[56:57], v[240:241]              // 000000008FCC: D3B140F0 1803E138
	v_pk_mul_f32 v[242:243], v[56:57], v[242:243]              // 000000008FD4: D3B140F2 1803E538
	v_pk_mul_f32 v[248:249], v[56:57], v[248:249]              // 000000008FDC: D3B140F8 1803F138
	v_pk_mul_f32 v[250:251], v[56:57], v[250:251]              // 000000008FE4: D3B140FA 1803F538
	v_mov_b32_e32 v56, v26                                     // 000000008FEC: 7E70031A
	v_mov_b32_e32 v57, v26                                     // 000000008FF0: 7E72031A
	v_pk_mul_f32 v[228:229], v[56:57], v[228:229]              // 000000008FF4: D3B140E4 1803C938
	v_pk_mul_f32 v[230:231], v[56:57], v[230:231]              // 000000008FFC: D3B140E6 1803CD38
	v_pk_mul_f32 v[236:237], v[56:57], v[236:237]              // 000000009004: D3B140EC 1803D938
	v_pk_mul_f32 v[238:239], v[56:57], v[238:239]              // 00000000900C: D3B140EE 1803DD38
	v_pk_mul_f32 v[244:245], v[56:57], v[244:245]              // 000000009014: D3B140F4 1803E938
	v_pk_mul_f32 v[246:247], v[56:57], v[246:247]              // 00000000901C: D3B140F6 1803ED38
	v_pk_mul_f32 v[252:253], v[56:57], v[252:253]              // 000000009024: D3B140FC 1803F938
	v_pk_mul_f32 v[254:255], v[56:57], v[254:255]              // 00000000902C: D3B140FE 1803FD38
	v_cvt_pkrtz_f16_f32 v224, v224, v225                       // 000000009034: D29600E0 0003C3E0
	v_cvt_pkrtz_f16_f32 v225, v226, v227                       // 00000000903C: D29600E1 0003C7E2
	v_cvt_pkrtz_f16_f32 v226, v228, v229                       // 000000009044: D29600E2 0003CBE4
	v_cvt_pkrtz_f16_f32 v227, v230, v231                       // 00000000904C: D29600E3 0003CFE6
	v_cvt_pkrtz_f16_f32 v228, v232, v233                       // 000000009054: D29600E4 0003D3E8
	v_cvt_pkrtz_f16_f32 v229, v234, v235                       // 00000000905C: D29600E5 0003D7EA
	v_cvt_pkrtz_f16_f32 v230, v236, v237                       // 000000009064: D29600E6 0003DBEC
	v_cvt_pkrtz_f16_f32 v231, v238, v239                       // 00000000906C: D29600E7 0003DFEE
	v_cvt_pkrtz_f16_f32 v232, v240, v241                       // 000000009074: D29600E8 0003E3F0
	v_cvt_pkrtz_f16_f32 v233, v242, v243                       // 00000000907C: D29600E9 0003E7F2
	v_cvt_pkrtz_f16_f32 v234, v244, v245                       // 000000009084: D29600EA 0003EBF4
	v_cvt_pkrtz_f16_f32 v235, v246, v247                       // 00000000908C: D29600EB 0003EFF6
	v_cvt_pkrtz_f16_f32 v236, v248, v249                       // 000000009094: D29600EC 0003F3F8
	v_cvt_pkrtz_f16_f32 v237, v250, v251                       // 00000000909C: D29600ED 0003F7FA
	v_cvt_pkrtz_f16_f32 v238, v252, v253                       // 0000000090A4: D29600EE 0003FBFC
	v_cvt_pkrtz_f16_f32 v239, v254, v255                       // 0000000090AC: D29600EF 0003FFFE
	s_cmp_ge_u32 s80, 0x200                                    // 0000000090B4: BF09FF50 00000200
	s_cselect_b32 s59, 0x200, s59                              // 0000000090BC: 853B3BFF 00000200
	s_setvskip s20, 0                                          // 0000000090C4: BF108014
	global_atomic_pk_add_f16 v80, v64, s[8:9]                  // 0000000090C8: DD388000 00084050
	s_setvskip 0, 0                                            // 0000000090D0: BF108080
	s_setvskip s20, 0                                          // 0000000090D4: BF108014
	global_atomic_pk_add_f16 v80, v65, s[8:9] offset:256       // 0000000090D8: DD388100 00084150
	s_setvskip 0, 0                                            // 0000000090E0: BF108080
	s_setvskip s20, 1                                          // 0000000090E4: BF108114
	global_atomic_pk_add_f16 v82, v66, s[8:9]                  // 0000000090E8: DD388000 00084252
	s_setvskip 0, 0                                            // 0000000090F0: BF108080
	s_setvskip s20, 1                                          // 0000000090F4: BF108114
	global_atomic_pk_add_f16 v82, v67, s[8:9] offset:256       // 0000000090F8: DD388100 00084352
	s_setvskip 0, 0                                            // 000000009100: BF108080
	s_setvskip s20, 2                                          // 000000009104: BF108214
	global_atomic_pk_add_f16 v84, v68, s[8:9]                  // 000000009108: DD388000 00084454
	s_setvskip 0, 0                                            // 000000009110: BF108080
	s_setvskip s20, 2                                          // 000000009114: BF108214
	global_atomic_pk_add_f16 v84, v69, s[8:9] offset:256       // 000000009118: DD388100 00084554
	s_setvskip 0, 0                                            // 000000009120: BF108080
	s_setvskip s20, 3                                          // 000000009124: BF108314
	global_atomic_pk_add_f16 v86, v70, s[8:9]                  // 000000009128: DD388000 00084656
	s_setvskip 0, 0                                            // 000000009130: BF108080
	s_setvskip s20, 3                                          // 000000009134: BF108314
	global_atomic_pk_add_f16 v86, v71, s[8:9] offset:256       // 000000009138: DD388100 00084756
	s_setvskip 0, 0                                            // 000000009140: BF108080
	s_setvskip s20, 4                                          // 000000009144: BF108414
	global_atomic_pk_add_f16 v88, v72, s[8:9]                  // 000000009148: DD388000 00084858
	s_setvskip 0, 0                                            // 000000009150: BF108080
	s_setvskip s20, 4                                          // 000000009154: BF108414
	global_atomic_pk_add_f16 v88, v73, s[8:9] offset:256       // 000000009158: DD388100 00084958
	s_setvskip 0, 0                                            // 000000009160: BF108080
	s_setvskip s20, 5                                          // 000000009164: BF108514
	global_atomic_pk_add_f16 v90, v74, s[8:9]                  // 000000009168: DD388000 00084A5A
	s_setvskip 0, 0                                            // 000000009170: BF108080
	s_setvskip s20, 5                                          // 000000009174: BF108514
	global_atomic_pk_add_f16 v90, v75, s[8:9] offset:256       // 000000009178: DD388100 00084B5A
	s_setvskip 0, 0                                            // 000000009180: BF108080
	s_setvskip s20, 6                                          // 000000009184: BF108614
	global_atomic_pk_add_f16 v92, v76, s[8:9]                  // 000000009188: DD388000 00084C5C
	s_setvskip 0, 0                                            // 000000009190: BF108080
	s_setvskip s20, 6                                          // 000000009194: BF108614
	global_atomic_pk_add_f16 v92, v77, s[8:9] offset:256       // 000000009198: DD388100 00084D5C
	s_setvskip 0, 0                                            // 0000000091A0: BF108080
	s_setvskip s20, 7                                          // 0000000091A4: BF108714
	global_atomic_pk_add_f16 v94, v78, s[8:9]                  // 0000000091A8: DD388000 00084E5E
	s_setvskip 0, 0                                            // 0000000091B0: BF108080
	s_setvskip s20, 7                                          // 0000000091B4: BF108714
	global_atomic_pk_add_f16 v94, v79, s[8:9] offset:256       // 0000000091B8: DD388100 00084F5E
	s_setvskip 0, 0                                            // 0000000091C0: BF108080
	s_add_u32 s8, s59, s8                                      // 0000000091C4: 8008083B
	s_addc_u32 s9, 0, s9                                       // 0000000091C8: 82090980
	s_addk_i32 s80, 0x100                                      // 0000000091CC: B7500100
	s_cmp_lt_i32 s80, s81                                      // 0000000091D0: BF045150
	s_cbranch_scc0 label_0DC9                                  // 0000000091D4: BF84F4D3
	s_branch label_155E                                        // 0000000091D8: BF82FC67

00000000000091dc <label_18F7>:
	s_cmp_ge_u32 s59, 0                                        // 0000000091DC: BF09803B
	s_cselect_b32 s59, 0x200, s59                              // 0000000091E0: 853B3BFF 00000200
	s_waitcnt lgkmcnt(0)                                       // 0000000091E8: BF8CC07F
	s_barrier                                                  // 0000000091EC: BF8A0000
	s_cmp_eq_u32 s64, 0x100                                    // 0000000091F0: BF06FF40 00000100
	s_cbranch_scc0 label_1973                                  // 0000000091F8: BF840074
	ds_write_b64 v4, v[192:193] offset:20736                   // 0000000091FC: D89A5100 0000C004
	ds_write_b64 v4, v[194:195] offset:29440                   // 000000009204: D89A7300 0000C204
	ds_write_b64 v4, v[196:197] offset:22912                   // 00000000920C: D89A5980 0000C404
	ds_write_b64 v4, v[198:199] offset:31616                   // 000000009214: D89A7B80 0000C604
	ds_write_b64 v4, v[200:201] offset:25088                   // 00000000921C: D89A6200 0000C804
	ds_write_b64 v4, v[202:203] offset:33792                   // 000000009224: D89A8400 0000CA04
	ds_write_b64 v4, v[204:205] offset:27264                   // 00000000922C: D89A6A80 0000CC04
	ds_write_b64 v4, v[206:207] offset:35968                   // 000000009234: D89A8C80 0000CE04
	s_waitcnt lgkmcnt(0)                                       // 00000000923C: BF8CC07F
	s_barrier                                                  // 000000009240: BF8A0000
	ds_read_b32 v64, v5 offset:20736                           // 000000009244: D86C5100 40000005
	ds_read_b32 v65, v5 offset:25088                           // 00000000924C: D86C6200 41000005
	ds_read_b32 v66, v5 offset:20768                           // 000000009254: D86C5120 42000005
	ds_read_b32 v67, v5 offset:25120                           // 00000000925C: D86C6220 43000005
	ds_read_b32 v68, v5 offset:20800                           // 000000009264: D86C5140 44000005
	ds_read_b32 v69, v5 offset:25152                           // 00000000926C: D86C6240 45000005
	ds_read_b32 v70, v5 offset:20832                           // 000000009274: D86C5160 46000005
	ds_read_b32 v71, v5 offset:25184                           // 00000000927C: D86C6260 47000005
	ds_read_b32 v72, v5 offset:29440                           // 000000009284: D86C7300 48000005
	ds_read_b32 v73, v5 offset:33792                           // 00000000928C: D86C8400 49000005
	ds_read_b32 v74, v5 offset:29472                           // 000000009294: D86C7320 4A000005
	ds_read_b32 v75, v5 offset:33824                           // 00000000929C: D86C8420 4B000005
	ds_read_b32 v76, v5 offset:29504                           // 0000000092A4: D86C7340 4C000005
	ds_read_b32 v77, v5 offset:33856                           // 0000000092AC: D86C8440 4D000005
	ds_read_b32 v78, v5 offset:29536                           // 0000000092B4: D86C7360 4E000005
	ds_read_b32 v79, v5 offset:33888                           // 0000000092BC: D86C8460 4F000005
	s_waitcnt lgkmcnt(0)                                       // 0000000092C4: BF8CC07F
	s_setvskip s20, 0                                          // 0000000092C8: BF108014
	global_atomic_pk_add_f16 v80, v64, s[8:9]                  // 0000000092CC: DD388000 00084050
	s_setvskip 0, 0                                            // 0000000092D4: BF108080
	s_setvskip s20, 0                                          // 0000000092D8: BF108014
	global_atomic_pk_add_f16 v80, v65, s[8:9] offset:256       // 0000000092DC: DD388100 00084150
	s_setvskip 0, 0                                            // 0000000092E4: BF108080
	s_setvskip s20, 1                                          // 0000000092E8: BF108114
	global_atomic_pk_add_f16 v82, v66, s[8:9]                  // 0000000092EC: DD388000 00084252
	s_setvskip 0, 0                                            // 0000000092F4: BF108080
	s_setvskip s20, 1                                          // 0000000092F8: BF108114
	global_atomic_pk_add_f16 v82, v67, s[8:9] offset:256       // 0000000092FC: DD388100 00084352
	s_setvskip 0, 0                                            // 000000009304: BF108080
	s_setvskip s20, 2                                          // 000000009308: BF108214
	global_atomic_pk_add_f16 v84, v68, s[8:9]                  // 00000000930C: DD388000 00084454
	s_setvskip 0, 0                                            // 000000009314: BF108080
	s_setvskip s20, 2                                          // 000000009318: BF108214
	global_atomic_pk_add_f16 v84, v69, s[8:9] offset:256       // 00000000931C: DD388100 00084554
	s_setvskip 0, 0                                            // 000000009324: BF108080
	s_setvskip s20, 3                                          // 000000009328: BF108314
	global_atomic_pk_add_f16 v86, v70, s[8:9]                  // 00000000932C: DD388000 00084656
	s_setvskip 0, 0                                            // 000000009334: BF108080
	s_setvskip s20, 3                                          // 000000009338: BF108314
	global_atomic_pk_add_f16 v86, v71, s[8:9] offset:256       // 00000000933C: DD388100 00084756
	s_setvskip 0, 0                                            // 000000009344: BF108080
	s_setvskip s20, 4                                          // 000000009348: BF108414
	global_atomic_pk_add_f16 v88, v72, s[8:9]                  // 00000000934C: DD388000 00084858
	s_setvskip 0, 0                                            // 000000009354: BF108080
	s_setvskip s20, 4                                          // 000000009358: BF108414
	global_atomic_pk_add_f16 v88, v73, s[8:9] offset:256       // 00000000935C: DD388100 00084958
	s_setvskip 0, 0                                            // 000000009364: BF108080
	s_setvskip s20, 5                                          // 000000009368: BF108514
	global_atomic_pk_add_f16 v90, v74, s[8:9]                  // 00000000936C: DD388000 00084A5A
	s_setvskip 0, 0                                            // 000000009374: BF108080
	s_setvskip s20, 5                                          // 000000009378: BF108514
	global_atomic_pk_add_f16 v90, v75, s[8:9] offset:256       // 00000000937C: DD388100 00084B5A
	s_setvskip 0, 0                                            // 000000009384: BF108080
	s_setvskip s20, 6                                          // 000000009388: BF108614
	global_atomic_pk_add_f16 v92, v76, s[8:9]                  // 00000000938C: DD388000 00084C5C
	s_setvskip 0, 0                                            // 000000009394: BF108080
	s_setvskip s20, 6                                          // 000000009398: BF108614
	global_atomic_pk_add_f16 v92, v77, s[8:9] offset:256       // 00000000939C: DD388100 00084D5C
	s_setvskip 0, 0                                            // 0000000093A4: BF108080
	s_setvskip s20, 7                                          // 0000000093A8: BF108714
	global_atomic_pk_add_f16 v94, v78, s[8:9]                  // 0000000093AC: DD388000 00084E5E
	s_setvskip 0, 0                                            // 0000000093B4: BF108080
	s_setvskip s20, 7                                          // 0000000093B8: BF108714
	global_atomic_pk_add_f16 v94, v79, s[8:9] offset:256       // 0000000093BC: DD388100 00084F5E
	s_setvskip 0, 0                                            // 0000000093C4: BF108080
	s_branch label_1A49                                        // 0000000093C8: BF8200D6

00000000000093cc <label_1973>:
	ds_read_b32 v64, v5 offset:20736                           // 0000000093CC: D86C5100 40000005
	ds_read_b32 v65, v5 offset:25088                           // 0000000093D4: D86C6200 41000005
	ds_read_b32 v66, v5 offset:20768                           // 0000000093DC: D86C5120 42000005
	ds_read_b32 v67, v5 offset:25120                           // 0000000093E4: D86C6220 43000005
	ds_read_b32 v68, v5 offset:20800                           // 0000000093EC: D86C5140 44000005
	ds_read_b32 v69, v5 offset:25152                           // 0000000093F4: D86C6240 45000005
	ds_read_b32 v70, v5 offset:20832                           // 0000000093FC: D86C5160 46000005
	ds_read_b32 v71, v5 offset:25184                           // 000000009404: D86C6260 47000005
	ds_read_b32 v72, v5 offset:29440                           // 00000000940C: D86C7300 48000005
	ds_read_b32 v73, v5 offset:33792                           // 000000009414: D86C8400 49000005
	ds_read_b32 v74, v5 offset:29472                           // 00000000941C: D86C7320 4A000005
	ds_read_b32 v75, v5 offset:33824                           // 000000009424: D86C8420 4B000005
	ds_read_b32 v76, v5 offset:29504                           // 00000000942C: D86C7340 4C000005
	ds_read_b32 v77, v5 offset:33856                           // 000000009434: D86C8440 4D000005
	ds_read_b32 v78, v5 offset:29536                           // 00000000943C: D86C7360 4E000005
	ds_read_b32 v79, v5 offset:33888                           // 000000009444: D86C8460 4F000005
	s_waitcnt lgkmcnt(0)                                       // 00000000944C: BF8CC07F
	s_setvskip s20, 0                                          // 000000009450: BF108014
	global_atomic_pk_add_f16 v80, v64, s[8:9]                  // 000000009454: DD388000 00084050
	s_setvskip 0, 0                                            // 00000000945C: BF108080
	s_setvskip s20, 0                                          // 000000009460: BF108014
	global_atomic_pk_add_f16 v80, v65, s[8:9] offset:256       // 000000009464: DD388100 00084150
	s_setvskip 0, 0                                            // 00000000946C: BF108080
	s_setvskip s20, 1                                          // 000000009470: BF108114
	global_atomic_pk_add_f16 v82, v66, s[8:9]                  // 000000009474: DD388000 00084252
	s_setvskip 0, 0                                            // 00000000947C: BF108080
	s_setvskip s20, 1                                          // 000000009480: BF108114
	global_atomic_pk_add_f16 v82, v67, s[8:9] offset:256       // 000000009484: DD388100 00084352
	s_setvskip 0, 0                                            // 00000000948C: BF108080
	s_setvskip s20, 2                                          // 000000009490: BF108214
	global_atomic_pk_add_f16 v84, v68, s[8:9]                  // 000000009494: DD388000 00084454
	s_setvskip 0, 0                                            // 00000000949C: BF108080
	s_setvskip s20, 2                                          // 0000000094A0: BF108214
	global_atomic_pk_add_f16 v84, v69, s[8:9] offset:256       // 0000000094A4: DD388100 00084554
	s_setvskip 0, 0                                            // 0000000094AC: BF108080
	s_setvskip s20, 3                                          // 0000000094B0: BF108314
	global_atomic_pk_add_f16 v86, v70, s[8:9]                  // 0000000094B4: DD388000 00084656
	s_setvskip 0, 0                                            // 0000000094BC: BF108080
	s_setvskip s20, 3                                          // 0000000094C0: BF108314
	global_atomic_pk_add_f16 v86, v71, s[8:9] offset:256       // 0000000094C4: DD388100 00084756
	s_setvskip 0, 0                                            // 0000000094CC: BF108080
	s_setvskip s20, 4                                          // 0000000094D0: BF108414
	global_atomic_pk_add_f16 v88, v72, s[8:9]                  // 0000000094D4: DD388000 00084858
	s_setvskip 0, 0                                            // 0000000094DC: BF108080
	s_setvskip s20, 4                                          // 0000000094E0: BF108414
	global_atomic_pk_add_f16 v88, v73, s[8:9] offset:256       // 0000000094E4: DD388100 00084958
	s_setvskip 0, 0                                            // 0000000094EC: BF108080
	s_setvskip s20, 5                                          // 0000000094F0: BF108514
	global_atomic_pk_add_f16 v90, v74, s[8:9]                  // 0000000094F4: DD388000 00084A5A
	s_setvskip 0, 0                                            // 0000000094FC: BF108080
	s_setvskip s20, 5                                          // 000000009500: BF108514
	global_atomic_pk_add_f16 v90, v75, s[8:9] offset:256       // 000000009504: DD388100 00084B5A
	s_setvskip 0, 0                                            // 00000000950C: BF108080
	s_setvskip s20, 6                                          // 000000009510: BF108614
	global_atomic_pk_add_f16 v92, v76, s[8:9]                  // 000000009514: DD388000 00084C5C
	s_setvskip 0, 0                                            // 00000000951C: BF108080
	s_setvskip s20, 6                                          // 000000009520: BF108614
	global_atomic_pk_add_f16 v92, v77, s[8:9] offset:256       // 000000009524: DD388100 00084D5C
	s_setvskip 0, 0                                            // 00000000952C: BF108080
	s_setvskip s20, 7                                          // 000000009530: BF108714
	global_atomic_pk_add_f16 v94, v78, s[8:9]                  // 000000009534: DD388000 00084E5E
	s_setvskip 0, 0                                            // 00000000953C: BF108080
	s_setvskip s20, 7                                          // 000000009540: BF108714
	global_atomic_pk_add_f16 v94, v79, s[8:9] offset:256       // 000000009544: DD388100 00084F5E
	s_setvskip 0, 0                                            // 00000000954C: BF108080
	s_add_u32 s8, s59, s8                                      // 000000009550: 8008083B
	s_addc_u32 s9, 0, s9                                       // 000000009554: 82090980
	ds_write_b64 v4, v[224:225] offset:38144                   // 000000009558: D89A9500 0000E004
	ds_write_b64 v4, v[226:227] offset:46848                   // 000000009560: D89AB700 0000E204
	ds_write_b64 v4, v[228:229] offset:40320                   // 000000009568: D89A9D80 0000E404
	ds_write_b64 v4, v[230:231] offset:49024                   // 000000009570: D89ABF80 0000E604
	ds_write_b64 v4, v[232:233] offset:42496                   // 000000009578: D89AA600 0000E804
	ds_write_b64 v4, v[234:235] offset:51200                   // 000000009580: D89AC800 0000EA04
	ds_write_b64 v4, v[236:237] offset:44672                   // 000000009588: D89AAE80 0000EC04
	ds_write_b64 v4, v[238:239] offset:53376                   // 000000009590: D89AD080 0000EE04
	s_waitcnt lgkmcnt(0)                                       // 000000009598: BF8CC07F
	s_barrier                                                  // 00000000959C: BF8A0000
	ds_read_b32 v64, v5 offset:38144                           // 0000000095A0: D86C9500 40000005
	ds_read_b32 v65, v5 offset:42496                           // 0000000095A8: D86CA600 41000005
	ds_read_b32 v66, v5 offset:38176                           // 0000000095B0: D86C9520 42000005
	ds_read_b32 v67, v5 offset:42528                           // 0000000095B8: D86CA620 43000005
	ds_read_b32 v68, v5 offset:38208                           // 0000000095C0: D86C9540 44000005
	ds_read_b32 v69, v5 offset:42560                           // 0000000095C8: D86CA640 45000005
	ds_read_b32 v70, v5 offset:38240                           // 0000000095D0: D86C9560 46000005
	ds_read_b32 v71, v5 offset:42592                           // 0000000095D8: D86CA660 47000005
	ds_read_b32 v72, v5 offset:46848                           // 0000000095E0: D86CB700 48000005
	ds_read_b32 v73, v5 offset:51200                           // 0000000095E8: D86CC800 49000005
	ds_read_b32 v74, v5 offset:46880                           // 0000000095F0: D86CB720 4A000005
	ds_read_b32 v75, v5 offset:51232                           // 0000000095F8: D86CC820 4B000005
	ds_read_b32 v76, v5 offset:46912                           // 000000009600: D86CB740 4C000005
	ds_read_b32 v77, v5 offset:51264                           // 000000009608: D86CC840 4D000005
	ds_read_b32 v78, v5 offset:46944                           // 000000009610: D86CB760 4E000005
	ds_read_b32 v79, v5 offset:51296                           // 000000009618: D86CC860 4F000005
	s_waitcnt lgkmcnt(0)                                       // 000000009620: BF8CC07F
	s_setvskip s20, 0                                          // 000000009624: BF108014
	global_atomic_pk_add_f16 v80, v64, s[8:9]                  // 000000009628: DD388000 00084050
	s_setvskip 0, 0                                            // 000000009630: BF108080
	s_setvskip s20, 0                                          // 000000009634: BF108014
	global_atomic_pk_add_f16 v80, v65, s[8:9] offset:256       // 000000009638: DD388100 00084150
	s_setvskip 0, 0                                            // 000000009640: BF108080
	s_setvskip s20, 1                                          // 000000009644: BF108114
	global_atomic_pk_add_f16 v82, v66, s[8:9]                  // 000000009648: DD388000 00084252
	s_setvskip 0, 0                                            // 000000009650: BF108080
	s_setvskip s20, 1                                          // 000000009654: BF108114
	global_atomic_pk_add_f16 v82, v67, s[8:9] offset:256       // 000000009658: DD388100 00084352
	s_setvskip 0, 0                                            // 000000009660: BF108080
	s_setvskip s20, 2                                          // 000000009664: BF108214
	global_atomic_pk_add_f16 v84, v68, s[8:9]                  // 000000009668: DD388000 00084454
	s_setvskip 0, 0                                            // 000000009670: BF108080
	s_setvskip s20, 2                                          // 000000009674: BF108214
	global_atomic_pk_add_f16 v84, v69, s[8:9] offset:256       // 000000009678: DD388100 00084554
	s_setvskip 0, 0                                            // 000000009680: BF108080
	s_setvskip s20, 3                                          // 000000009684: BF108314
	global_atomic_pk_add_f16 v86, v70, s[8:9]                  // 000000009688: DD388000 00084656
	s_setvskip 0, 0                                            // 000000009690: BF108080
	s_setvskip s20, 3                                          // 000000009694: BF108314
	global_atomic_pk_add_f16 v86, v71, s[8:9] offset:256       // 000000009698: DD388100 00084756
	s_setvskip 0, 0                                            // 0000000096A0: BF108080
	s_setvskip s20, 4                                          // 0000000096A4: BF108414
	global_atomic_pk_add_f16 v88, v72, s[8:9]                  // 0000000096A8: DD388000 00084858
	s_setvskip 0, 0                                            // 0000000096B0: BF108080
	s_setvskip s20, 4                                          // 0000000096B4: BF108414
	global_atomic_pk_add_f16 v88, v73, s[8:9] offset:256       // 0000000096B8: DD388100 00084958
	s_setvskip 0, 0                                            // 0000000096C0: BF108080
	s_setvskip s20, 5                                          // 0000000096C4: BF108514
	global_atomic_pk_add_f16 v90, v74, s[8:9]                  // 0000000096C8: DD388000 00084A5A
	s_setvskip 0, 0                                            // 0000000096D0: BF108080
	s_setvskip s20, 5                                          // 0000000096D4: BF108514
	global_atomic_pk_add_f16 v90, v75, s[8:9] offset:256       // 0000000096D8: DD388100 00084B5A
	s_setvskip 0, 0                                            // 0000000096E0: BF108080
	s_setvskip s20, 6                                          // 0000000096E4: BF108614
	global_atomic_pk_add_f16 v92, v76, s[8:9]                  // 0000000096E8: DD388000 00084C5C
	s_setvskip 0, 0                                            // 0000000096F0: BF108080
	s_setvskip s20, 6                                          // 0000000096F4: BF108614
	global_atomic_pk_add_f16 v92, v77, s[8:9] offset:256       // 0000000096F8: DD388100 00084D5C
	s_setvskip 0, 0                                            // 000000009700: BF108080
	s_setvskip s20, 7                                          // 000000009704: BF108714
	global_atomic_pk_add_f16 v94, v78, s[8:9]                  // 000000009708: DD388000 00084E5E
	s_setvskip 0, 0                                            // 000000009710: BF108080
	s_setvskip s20, 7                                          // 000000009714: BF108714
	global_atomic_pk_add_f16 v94, v79, s[8:9] offset:256       // 000000009718: DD388100 00084F5E
	s_setvskip 0, 0                                            // 000000009720: BF108080

0000000000009724 <label_1A49>:
	s_waitcnt vmcnt(0) expcnt(0) lgkmcnt(0)                    // 000000009724: BF8C0000
	s_endpgm                                                   // 000000009728: BF810000
